;; amdgpu-corpus repo=ROCm/rocFFT kind=compiled arch=gfx1201 opt=O3
	.text
	.amdgcn_target "amdgcn-amd-amdhsa--gfx1201"
	.amdhsa_code_object_version 6
	.protected	bluestein_single_back_len4000_dim1_dp_op_CI_CI ; -- Begin function bluestein_single_back_len4000_dim1_dp_op_CI_CI
	.globl	bluestein_single_back_len4000_dim1_dp_op_CI_CI
	.p2align	8
	.type	bluestein_single_back_len4000_dim1_dp_op_CI_CI,@function
bluestein_single_back_len4000_dim1_dp_op_CI_CI: ; @bluestein_single_back_len4000_dim1_dp_op_CI_CI
; %bb.0:
	s_load_b128 s[16:19], s[0:1], 0x28
	v_mul_u32_u24_e32 v1, 0x148, v0
	s_mov_b32 s2, exec_lo
	v_mov_b32_e32 v3, 0
	s_delay_alu instid0(VALU_DEP_2) | instskip(NEXT) | instid1(VALU_DEP_1)
	v_lshrrev_b32_e32 v1, 16, v1
	v_add_nc_u32_e32 v2, ttmp9, v1
	s_wait_kmcnt 0x0
	s_delay_alu instid0(VALU_DEP_1)
	v_cmpx_gt_u64_e64 s[16:17], v[2:3]
	s_cbranch_execz .LBB0_2
; %bb.1:
	s_clause 0x1
	s_load_b128 s[4:7], s[0:1], 0x18
	s_load_b128 s[8:11], s[0:1], 0x0
	v_mul_lo_u16 v1, 0xc8, v1
	s_mov_b32 s16, 0x134454ff
	s_mov_b32 s17, 0x3fee6f0e
	;; [unrolled: 1-line block ×4, first 2 shown]
	v_sub_nc_u16 v0, v0, v1
	s_mov_b32 s21, 0xbfd3c6ef
	s_mov_b32 s23, 0xbfe9e377
	v_mov_b32_e32 v5, v2
	s_mov_b32 s22, s24
	v_and_b32_e32 v212, 0xffff, v0
	s_load_b64 s[0:1], s[0:1], 0x38
	scratch_store_b64 off, v[5:6], off      ; 8-byte Folded Spill
	v_lshlrev_b32_e32 v48, 4, v212
	s_wait_kmcnt 0x0
	s_load_b128 s[12:15], s[4:5], 0x0
	s_wait_kmcnt 0x0
	v_mad_co_u64_u32 v[1:2], null, s14, v5, 0
	v_mad_co_u64_u32 v[3:4], null, s12, v212, 0
	s_mul_u64 s[2:3], s[12:13], 0x1900
	s_mul_i32 s4, s13, 0xffff2b80
	s_delay_alu instid0(SALU_CYCLE_1) | instskip(NEXT) | instid1(VALU_DEP_1)
	s_sub_co_i32 s4, s4, s12
	v_mad_co_u64_u32 v[5:6], null, s15, v5, v[2:3]
	s_mov_b32 s14, 0x372fe950
	s_mov_b32 s15, 0x3fd3c6ef
	s_wait_alu 0xfffe
	s_mov_b32 s20, s14
	s_delay_alu instid0(VALU_DEP_1) | instskip(SKIP_2) | instid1(VALU_DEP_1)
	v_mad_co_u64_u32 v[6:7], null, s13, v212, v[4:5]
	v_mov_b32_e32 v2, v5
	s_mov_b32 s13, 0xbfe2cf23
	v_lshlrev_b64_e32 v[1:2], 4, v[1:2]
	s_delay_alu instid0(VALU_DEP_3) | instskip(NEXT) | instid1(VALU_DEP_2)
	v_mov_b32_e32 v4, v6
	v_add_co_u32 v1, vcc_lo, s18, v1
	s_delay_alu instid0(VALU_DEP_2) | instskip(NEXT) | instid1(VALU_DEP_4)
	v_lshlrev_b64_e32 v[3:4], 4, v[3:4]
	v_add_co_ci_u32_e32 v2, vcc_lo, s19, v2, vcc_lo
	s_mov_b32 s19, 0xbfee6f0e
	s_mov_b32 s18, s16
	s_delay_alu instid0(VALU_DEP_2)
	v_add_co_u32 v5, vcc_lo, v1, v3
	s_wait_alu 0xfffd
	v_add_co_ci_u32_e32 v6, vcc_lo, v2, v4, vcc_lo
	global_load_b128 v[19:22], v48, s[8:9]
	global_load_b128 v[1:4], v[5:6], off
	v_add_co_u32 v9, vcc_lo, v5, s2
	s_wait_alu 0xfffd
	v_add_co_ci_u32_e32 v10, vcc_lo, s3, v6, vcc_lo
	global_load_b128 v[23:26], v48, s[8:9] offset:6400
	global_load_b128 v[5:8], v[9:10], off
	v_add_co_u32 v13, vcc_lo, v9, s2
	s_wait_alu 0xfffd
	v_add_co_ci_u32_e32 v14, vcc_lo, s3, v10, vcc_lo
	global_load_b128 v[27:30], v48, s[8:9] offset:12800
	global_load_b128 v[9:12], v[13:14], off
	s_clause 0x7
	global_load_b128 v[43:46], v48, s[8:9] offset:51200
	global_load_b128 v[49:52], v48, s[8:9] offset:57600
	;; [unrolled: 1-line block ×8, first 2 shown]
	s_wait_loadcnt 0xd
	scratch_store_b128 off, v[19:22], off offset:152 ; 16-byte Folded Spill
	s_wait_loadcnt 0xc
	v_mul_f64_e32 v[15:16], v[3:4], v[21:22]
	v_mul_f64_e32 v[17:18], v[1:2], v[21:22]
	s_wait_loadcnt 0xb
	scratch_store_b128 off, v[23:26], off offset:136 ; 16-byte Folded Spill
	s_wait_loadcnt 0x9
	scratch_store_b128 off, v[27:30], off offset:104 ; 16-byte Folded Spill
	;; [unrolled: 2-line block ×10, first 2 shown]
	v_fma_f64 v[1:2], v[1:2], v[19:20], v[15:16]
	v_mul_f64_e32 v[15:16], v[7:8], v[25:26]
	v_fma_f64 v[3:4], v[3:4], v[19:20], -v[17:18]
	v_mul_f64_e32 v[17:18], v[5:6], v[25:26]
	v_add_co_u32 v19, vcc_lo, v13, s2
	s_wait_alu 0xfffd
	v_add_co_ci_u32_e32 v20, vcc_lo, s3, v14, vcc_lo
	v_fma_f64 v[5:6], v[5:6], v[23:24], v[15:16]
	v_mul_f64_e32 v[15:16], v[11:12], v[29:30]
	v_fma_f64 v[7:8], v[7:8], v[23:24], -v[17:18]
	v_mul_f64_e32 v[17:18], v[9:10], v[29:30]
	global_load_b128 v[23:26], v48, s[8:9] offset:19200
	v_fma_f64 v[9:10], v[9:10], v[27:28], v[15:16]
	global_load_b128 v[13:16], v[19:20], off
	v_fma_f64 v[11:12], v[11:12], v[27:28], -v[17:18]
	global_load_b128 v[27:30], v48, s[8:9] offset:25600
	s_wait_loadcnt 0x2
	scratch_store_b128 off, v[23:26], off offset:24 ; 16-byte Folded Spill
	s_wait_loadcnt 0x1
	v_mul_f64_e32 v[21:22], v[13:14], v[25:26]
	v_mul_f64_e32 v[17:18], v[15:16], v[25:26]
	s_wait_loadcnt 0x0
	scratch_store_b128 off, v[27:30], off offset:8 ; 16-byte Folded Spill
	v_fma_f64 v[15:16], v[15:16], v[23:24], -v[21:22]
	v_add_co_u32 v21, vcc_lo, v19, s2
	s_wait_alu 0xfffd
	v_add_co_ci_u32_e32 v22, vcc_lo, s3, v20, vcc_lo
	v_fma_f64 v[13:14], v[13:14], v[23:24], v[17:18]
	global_load_b128 v[17:20], v[21:22], off
	s_wait_loadcnt 0x0
	v_mul_f64_e32 v[25:26], v[17:18], v[29:30]
	v_mul_f64_e32 v[23:24], v[19:20], v[29:30]
	s_delay_alu instid0(VALU_DEP_2) | instskip(SKIP_3) | instid1(VALU_DEP_4)
	v_fma_f64 v[19:20], v[19:20], v[27:28], -v[25:26]
	v_add_co_u32 v25, vcc_lo, v21, s2
	s_wait_alu 0xfffd
	v_add_co_ci_u32_e32 v26, vcc_lo, s3, v22, vcc_lo
	v_fma_f64 v[17:18], v[17:18], v[27:28], v[23:24]
	global_load_b128 v[21:24], v[25:26], off
	s_wait_loadcnt 0x0
	v_mul_f64_e32 v[29:30], v[21:22], v[33:34]
	v_mul_f64_e32 v[27:28], v[23:24], v[33:34]
	s_delay_alu instid0(VALU_DEP_2) | instskip(SKIP_3) | instid1(VALU_DEP_4)
	;; [unrolled: 10-line block ×5, first 2 shown]
	v_fma_f64 v[35:36], v[35:36], v[43:44], -v[41:42]
	v_add_co_u32 v41, vcc_lo, v37, s2
	s_wait_alu 0xfffd
	v_add_co_ci_u32_e32 v42, vcc_lo, s3, v38, vcc_lo
	v_fma_f64 v[33:34], v[33:34], v[43:44], v[39:40]
	global_load_b128 v[37:40], v[41:42], off
	s_wait_loadcnt 0x0
	v_mul_f64_e32 v[45:46], v[37:38], v[51:52]
	v_mul_f64_e32 v[43:44], v[39:40], v[51:52]
	s_delay_alu instid0(VALU_DEP_2) | instskip(SKIP_1) | instid1(VALU_DEP_3)
	v_fma_f64 v[39:40], v[39:40], v[49:50], -v[45:46]
	v_mad_co_u64_u32 v[45:46], null, 0xffff2b80, s12, v[41:42]
	v_fma_f64 v[37:38], v[37:38], v[49:50], v[43:44]
	s_delay_alu instid0(VALU_DEP_2)
	v_add_nc_u32_e32 v46, s4, v46
	global_load_b128 v[41:44], v[45:46], off
	v_add_co_u32 v45, vcc_lo, v45, s2
	s_wait_alu 0xfffd
	v_add_co_ci_u32_e32 v46, vcc_lo, s3, v46, vcc_lo
	s_wait_loadcnt 0x0
	v_mul_f64_e32 v[49:50], v[43:44], v[55:56]
	v_mul_f64_e32 v[51:52], v[41:42], v[55:56]
	s_delay_alu instid0(VALU_DEP_2) | instskip(NEXT) | instid1(VALU_DEP_2)
	v_fma_f64 v[41:42], v[41:42], v[53:54], v[49:50]
	v_fma_f64 v[43:44], v[43:44], v[53:54], -v[51:52]
	global_load_b128 v[49:52], v[45:46], off
	v_add_co_u32 v45, vcc_lo, v45, s2
	s_wait_alu 0xfffd
	v_add_co_ci_u32_e32 v46, vcc_lo, s3, v46, vcc_lo
	s_wait_loadcnt 0x0
	v_mul_f64_e32 v[53:54], v[51:52], v[59:60]
	v_mul_f64_e32 v[55:56], v[49:50], v[59:60]
	s_delay_alu instid0(VALU_DEP_2) | instskip(NEXT) | instid1(VALU_DEP_2)
	v_fma_f64 v[49:50], v[49:50], v[57:58], v[53:54]
	v_fma_f64 v[51:52], v[51:52], v[57:58], -v[55:56]
	;; [unrolled: 10-line block ×3, first 2 shown]
	global_load_b128 v[61:64], v48, s[8:9] offset:22400
	global_load_b128 v[53:56], v[45:46], off
	v_add_co_u32 v45, vcc_lo, v45, s2
	s_wait_alu 0xfffd
	v_add_co_ci_u32_e32 v46, vcc_lo, s3, v46, vcc_lo
	s_wait_loadcnt 0x1
	scratch_store_b128 off, v[61:64], off offset:216 ; 16-byte Folded Spill
	s_wait_loadcnt 0x0
	v_mul_f64_e32 v[57:58], v[55:56], v[63:64]
	v_mul_f64_e32 v[59:60], v[53:54], v[63:64]
	global_load_b128 v[64:67], v48, s[8:9] offset:28800
	v_fma_f64 v[84:85], v[53:54], v[61:62], v[57:58]
	v_fma_f64 v[86:87], v[55:56], v[61:62], -v[59:60]
	global_load_b128 v[60:63], v[45:46], off
	v_add_co_u32 v45, vcc_lo, v45, s2
	s_wait_alu 0xfffd
	v_add_co_ci_u32_e32 v46, vcc_lo, s3, v46, vcc_lo
	s_wait_loadcnt 0x0
	v_mul_f64_e32 v[53:54], v[62:63], v[66:67]
	v_mul_f64_e32 v[55:56], v[60:61], v[66:67]
	s_delay_alu instid0(VALU_DEP_2) | instskip(NEXT) | instid1(VALU_DEP_2)
	v_fma_f64 v[88:89], v[60:61], v[64:65], v[53:54]
	v_fma_f64 v[90:91], v[62:63], v[64:65], -v[55:56]
	global_load_b128 v[57:60], v48, s[8:9] offset:35200
	scratch_store_b128 off, v[64:67], off offset:232 ; 16-byte Folded Spill
	global_load_b128 v[64:67], v[45:46], off
	v_add_co_u32 v45, vcc_lo, v45, s2
	s_wait_alu 0xfffd
	v_add_co_ci_u32_e32 v46, vcc_lo, s3, v46, vcc_lo
	global_load_b128 v[68:71], v[45:46], off
	v_add_co_u32 v45, vcc_lo, v45, s2
	s_wait_alu 0xfffd
	v_add_co_ci_u32_e32 v46, vcc_lo, s3, v46, vcc_lo
	;; [unrolled: 4-line block ×4, first 2 shown]
	s_mov_b32 s2, 0x4755a5e
	s_mov_b32 s3, 0x3fe2cf23
	s_wait_alu 0xfffe
	s_mov_b32 s12, s2
	v_cmp_gt_u16_e32 vcc_lo, 0x64, v0
	s_wait_loadcnt 0x4
	scratch_store_b128 off, v[57:60], off offset:248 ; 16-byte Folded Spill
	s_wait_loadcnt 0x3
	v_mul_f64_e32 v[53:54], v[66:67], v[59:60]
	v_mul_f64_e32 v[55:56], v[64:65], v[59:60]
	s_delay_alu instid0(VALU_DEP_2) | instskip(NEXT) | instid1(VALU_DEP_2)
	v_fma_f64 v[92:93], v[64:65], v[57:58], v[53:54]
	v_fma_f64 v[94:95], v[66:67], v[57:58], -v[55:56]
	global_load_b128 v[57:60], v48, s[8:9] offset:41600
	s_wait_loadcnt 0x0
	v_mul_f64_e32 v[53:54], v[70:71], v[59:60]
	v_mul_f64_e32 v[55:56], v[68:69], v[59:60]
	scratch_store_b128 off, v[57:60], off offset:264 ; 16-byte Folded Spill
	v_fma_f64 v[96:97], v[68:69], v[57:58], v[53:54]
	v_fma_f64 v[98:99], v[70:71], v[57:58], -v[55:56]
	global_load_b128 v[57:60], v48, s[8:9] offset:48000
	s_wait_loadcnt 0x0
	v_mul_f64_e32 v[53:54], v[74:75], v[59:60]
	v_mul_f64_e32 v[55:56], v[72:73], v[59:60]
	scratch_store_b128 off, v[57:60], off offset:280 ; 16-byte Folded Spill
	;; [unrolled: 7-line block ×3, first 2 shown]
	v_fma_f64 v[104:105], v[76:77], v[57:58], v[53:54]
	v_fma_f64 v[106:107], v[78:79], v[57:58], -v[55:56]
	global_load_b128 v[108:111], v[45:46], off
	global_load_b128 v[55:58], v48, s[8:9] offset:60800
	s_wait_loadcnt 0x0
	v_mul_f64_e32 v[45:46], v[110:111], v[57:58]
	v_mul_f64_e32 v[53:54], v[108:109], v[57:58]
	scratch_store_b128 off, v[55:58], off offset:312 ; 16-byte Folded Spill
	v_fma_f64 v[108:109], v[108:109], v[55:56], v[45:46]
	v_fma_f64 v[110:111], v[110:111], v[55:56], -v[53:54]
	ds_store_b128 v48, v[1:4]
	ds_store_b128 v48, v[5:8] offset:6400
	ds_store_b128 v48, v[9:12] offset:12800
	;; [unrolled: 1-line block ×19, first 2 shown]
	s_load_b128 s[4:7], s[6:7], 0x0
	global_wb scope:SCOPE_SE
	s_wait_storecnt_dscnt 0x0
	s_wait_kmcnt 0x0
	s_barrier_signal -1
	s_barrier_wait -1
	global_inv scope:SCOPE_SE
	ds_load_b128 v[40:43], v48
	ds_load_b128 v[44:47], v48 offset:12800
	ds_load_b128 v[1:4], v48 offset:25600
	;; [unrolled: 1-line block ×3, first 2 shown]
	s_wait_dscnt 0x2
	v_add_f64_e32 v[5:6], v[40:41], v[44:45]
	s_wait_dscnt 0x1
	v_add_f64_e64 v[24:25], v[44:45], -v[1:2]
	s_wait_dscnt 0x0
	v_add_f64_e32 v[28:29], v[1:2], v[8:9]
	v_add_f64_e64 v[20:21], v[1:2], -v[44:45]
	v_add_f64_e64 v[14:15], v[1:2], -v[8:9]
	;; [unrolled: 1-line block ×3, first 2 shown]
	v_add_f64_e32 v[30:31], v[3:4], v[10:11]
	v_add_f64_e64 v[26:27], v[46:47], -v[3:4]
	v_add_f64_e64 v[22:23], v[3:4], -v[46:47]
	v_add_f64_e32 v[38:39], v[5:6], v[1:2]
	v_add_f64_e32 v[5:6], v[42:43], v[46:47]
	s_delay_alu instid0(VALU_DEP_2) | instskip(NEXT) | instid1(VALU_DEP_2)
	v_add_f64_e32 v[1:2], v[38:39], v[8:9]
	v_add_f64_e32 v[36:37], v[5:6], v[3:4]
	ds_load_b128 v[4:7], v48 offset:51200
	s_wait_dscnt 0x0
	v_add_f64_e64 v[16:17], v[46:47], -v[6:7]
	v_add_f64_e32 v[32:33], v[44:45], v[4:5]
	v_add_f64_e64 v[18:19], v[44:45], -v[4:5]
	v_add_f64_e32 v[34:35], v[46:47], v[6:7]
	v_add_f64_e64 v[53:54], v[4:5], -v[8:9]
	v_add_f64_e64 v[55:56], v[8:9], -v[4:5]
	v_add_f64_e64 v[57:58], v[6:7], -v[10:11]
	v_add_f64_e32 v[59:60], v[1:2], v[4:5]
	v_add_f64_e32 v[36:37], v[36:37], v[10:11]
	v_add_f64_e64 v[9:10], v[10:11], -v[6:7]
	v_add_f64_e32 v[53:54], v[24:25], v[53:54]
	v_add_f64_e32 v[57:58], v[26:27], v[57:58]
	s_delay_alu instid0(VALU_DEP_4)
	v_add_f64_e32 v[61:62], v[36:37], v[6:7]
	ds_load_b128 v[1:4], v48 offset:6400
	ds_load_b128 v[5:8], v48 offset:19200
	;; [unrolled: 1-line block ×4, first 2 shown]
	v_add_f64_e32 v[9:10], v[22:23], v[9:10]
	s_wait_dscnt 0x2
	v_add_f64_e32 v[49:50], v[1:2], v[5:6]
	v_add_f64_e32 v[51:52], v[3:4], v[7:8]
	s_wait_dscnt 0x1
	v_add_f64_e64 v[63:64], v[7:8], -v[38:39]
	s_wait_dscnt 0x0
	v_add_f64_e64 v[65:66], v[5:6], -v[44:45]
	v_add_f64_e32 v[67:68], v[5:6], v[36:37]
	v_add_f64_e64 v[69:70], v[44:45], -v[5:6]
	v_add_f64_e32 v[71:72], v[7:8], v[38:39]
	v_add_f64_e64 v[73:74], v[5:6], -v[36:37]
	v_add_f64_e64 v[75:76], v[7:8], -v[46:47]
	;; [unrolled: 1-line block ×3, first 2 shown]
	ds_load_b128 v[5:8], v48 offset:44800
	s_wait_dscnt 0x0
	v_add_f64_e32 v[84:85], v[44:45], v[5:6]
	v_add_f64_e64 v[86:87], v[46:47], -v[7:8]
	v_add_f64_e32 v[88:89], v[46:47], v[7:8]
	v_add_f64_e64 v[90:91], v[44:45], -v[5:6]
	v_add_f64_e64 v[92:93], v[36:37], -v[5:6]
	;; [unrolled: 1-line block ×5, first 2 shown]
	v_add_f64_e32 v[49:50], v[49:50], v[44:45]
	v_add_f64_e32 v[51:52], v[51:52], v[46:47]
	v_fma_f64 v[67:68], v[67:68], -0.5, v[1:2]
	v_fma_f64 v[71:72], v[71:72], -0.5, v[3:4]
	;; [unrolled: 1-line block ×3, first 2 shown]
	v_add_f64_e32 v[44:45], v[49:50], v[5:6]
	v_add_f64_e32 v[46:47], v[51:52], v[7:8]
	v_fma_f64 v[22:23], v[86:87], s[18:19], v[67:68]
	s_delay_alu instid0(VALU_DEP_4) | instskip(NEXT) | instid1(VALU_DEP_4)
	v_fma_f64 v[26:27], v[73:74], s[18:19], v[88:89]
	v_add_f64_e32 v[100:101], v[44:45], v[36:37]
	s_delay_alu instid0(VALU_DEP_4)
	v_add_f64_e32 v[102:103], v[46:47], v[38:39]
	ds_load_b128 v[5:8], v48 offset:3200
	ds_load_b128 v[36:39], v48 offset:16000
	;; [unrolled: 1-line block ×4, first 2 shown]
	v_fma_f64 v[22:23], v[63:64], s[2:3], v[22:23]
	s_wait_dscnt 0x2
	v_add_f64_e32 v[79:80], v[5:6], v[36:37]
	v_add_f64_e32 v[81:82], v[7:8], v[38:39]
	s_wait_dscnt 0x1
	v_add_f64_e64 v[104:105], v[38:39], -v[46:47]
	s_wait_dscnt 0x0
	v_add_f64_e64 v[106:107], v[36:37], -v[49:50]
	v_add_f64_e32 v[108:109], v[36:37], v[44:45]
	v_add_f64_e64 v[110:111], v[49:50], -v[36:37]
	v_add_f64_e64 v[112:113], v[36:37], -v[44:45]
	;; [unrolled: 1-line block ×3, first 2 shown]
	v_add_f64_e32 v[116:117], v[38:39], v[46:47]
	v_add_f64_e64 v[118:119], v[51:52], -v[38:39]
	ds_load_b128 v[36:39], v48 offset:41600
	v_fma_f64 v[26:27], v[90:91], s[12:13], v[26:27]
	v_add_f64_e32 v[3:4], v[61:62], v[102:103]
	s_wait_dscnt 0x0
	v_add_f64_e32 v[120:121], v[49:50], v[36:37]
	v_add_f64_e64 v[122:123], v[51:52], -v[38:39]
	v_add_f64_e32 v[124:125], v[51:52], v[38:39]
	v_add_f64_e64 v[126:127], v[49:50], -v[36:37]
	v_add_f64_e64 v[128:129], v[44:45], -v[36:37]
	;; [unrolled: 1-line block ×5, first 2 shown]
	v_add_f64_e32 v[79:80], v[79:80], v[49:50]
	v_add_f64_e32 v[81:82], v[81:82], v[51:52]
	v_fma_f64 v[108:109], v[108:109], -0.5, v[5:6]
	v_fma_f64 v[116:117], v[116:117], -0.5, v[7:8]
	;; [unrolled: 1-line block ×3, first 2 shown]
	v_add_f64_e64 v[5:6], v[59:60], -v[100:101]
	v_fma_f64 v[124:125], v[124:125], -0.5, v[7:8]
	v_add_f64_e64 v[7:8], v[61:62], -v[102:103]
	v_add_f64_e32 v[61:62], v[75:76], v[96:97]
	v_add_f64_e32 v[49:50], v[79:80], v[36:37]
	;; [unrolled: 1-line block ×3, first 2 shown]
	s_delay_alu instid0(VALU_DEP_3) | instskip(NEXT) | instid1(VALU_DEP_3)
	v_fma_f64 v[26:27], v[61:62], s[14:15], v[26:27]
	v_add_f64_e32 v[136:137], v[49:50], v[44:45]
	s_delay_alu instid0(VALU_DEP_3)
	v_add_f64_e32 v[138:139], v[51:52], v[46:47]
	ds_load_b128 v[36:39], v48 offset:9600
	ds_load_b128 v[44:47], v48 offset:22400
	;; [unrolled: 1-line block ×4, first 2 shown]
	s_wait_dscnt 0x2
	v_add_f64_e32 v[142:143], v[38:39], v[46:47]
	v_add_f64_e32 v[140:141], v[36:37], v[44:45]
	s_wait_dscnt 0x1
	v_add_f64_e64 v[144:145], v[46:47], -v[51:52]
	s_wait_dscnt 0x0
	v_add_f64_e64 v[146:147], v[44:45], -v[80:81]
	v_add_f64_e32 v[148:149], v[44:45], v[49:50]
	v_add_f64_e64 v[150:151], v[80:81], -v[44:45]
	v_add_f64_e64 v[152:153], v[44:45], -v[49:50]
	v_add_f64_e64 v[154:155], v[46:47], -v[82:83]
	v_add_f64_e32 v[156:157], v[46:47], v[51:52]
	v_add_f64_e64 v[158:159], v[82:83], -v[46:47]
	ds_load_b128 v[44:47], v48 offset:48000
	global_wb scope:SCOPE_SE
	s_wait_dscnt 0x0
	s_barrier_signal -1
	s_barrier_wait -1
	global_inv scope:SCOPE_SE
	v_add_f64_e32 v[162:163], v[82:83], v[46:47]
	v_add_f64_e64 v[166:167], v[82:83], -v[46:47]
	v_add_f64_e32 v[160:161], v[80:81], v[44:45]
	v_add_f64_e64 v[164:165], v[80:81], -v[44:45]
	v_add_f64_e64 v[168:169], v[51:52], -v[46:47]
	v_add_f64_e64 v[170:171], v[46:47], -v[51:52]
	v_add_f64_e32 v[142:143], v[142:143], v[82:83]
	v_fma_f64 v[83:84], v[84:85], -0.5, v[1:2]
	v_add_f64_e32 v[140:141], v[140:141], v[80:81]
	v_add_f64_e32 v[1:2], v[59:60], v[100:101]
	;; [unrolled: 1-line block ×3, first 2 shown]
	v_fma_f64 v[148:149], v[148:149], -0.5, v[36:37]
	v_fma_f64 v[156:157], v[156:157], -0.5, v[38:39]
	;; [unrolled: 1-line block ×4, first 2 shown]
	v_add_f64_e32 v[81:82], v[142:143], v[46:47]
	v_fma_f64 v[24:25], v[63:64], s[16:17], v[83:84]
	v_add_f64_e32 v[79:80], v[140:141], v[44:45]
	v_add_f64_e64 v[140:141], v[49:50], -v[44:45]
	v_add_f64_e64 v[142:143], v[44:45], -v[49:50]
	v_add_f64_e32 v[46:47], v[81:82], v[51:52]
	v_fma_f64 v[24:25], v[86:87], s[2:3], v[24:25]
	v_add_f64_e32 v[44:45], v[79:80], v[49:50]
	v_fma_f64 v[79:80], v[28:29], -0.5, v[40:41]
	v_fma_f64 v[49:50], v[32:33], -0.5, v[40:41]
	;; [unrolled: 1-line block ×4, first 2 shown]
	v_add_f64_e32 v[30:31], v[138:139], v[46:47]
	v_fma_f64 v[24:25], v[59:60], s[14:15], v[24:25]
	v_add_f64_e32 v[28:29], v[136:137], v[44:45]
	v_add_f64_e64 v[32:33], v[136:137], -v[44:45]
	v_add_f64_e32 v[44:45], v[20:21], v[55:56]
	v_fma_f64 v[20:21], v[90:91], s[16:17], v[71:72]
	v_add_f64_e32 v[55:56], v[77:78], v[98:99]
	v_add_f64_e64 v[34:35], v[138:139], -v[46:47]
	v_add_f64_e32 v[46:47], v[69:70], v[94:95]
	v_mov_b32_e32 v139, v212
	v_mul_f64_e32 v[36:37], s[24:25], v[24:25]
	v_mul_f64_e32 v[24:25], s[12:13], v[24:25]
	v_fma_f64 v[20:21], v[73:74], s[12:13], v[20:21]
	v_fma_f64 v[22:23], v[46:47], s[14:15], v[22:23]
	s_delay_alu instid0(VALU_DEP_4) | instskip(NEXT) | instid1(VALU_DEP_4)
	v_fma_f64 v[36:37], v[26:27], s[2:3], v[36:37]
	v_fma_f64 v[38:39], v[26:27], s[24:25], v[24:25]
	;; [unrolled: 1-line block ×5, first 2 shown]
	s_delay_alu instid0(VALU_DEP_3) | instskip(NEXT) | instid1(VALU_DEP_3)
	v_fma_f64 v[24:25], v[12:13], s[2:3], v[24:25]
	v_fma_f64 v[26:27], v[14:15], s[12:13], v[26:27]
	s_delay_alu instid0(VALU_DEP_2) | instskip(NEXT) | instid1(VALU_DEP_2)
	v_fma_f64 v[40:41], v[53:54], s[14:15], v[24:25]
	v_fma_f64 v[42:43], v[57:58], s[14:15], v[26:27]
	s_delay_alu instid0(VALU_DEP_2) | instskip(SKIP_2) | instid1(VALU_DEP_4)
	v_add_f64_e32 v[24:25], v[40:41], v[36:37]
	v_add_f64_e64 v[36:37], v[40:41], -v[36:37]
	v_mul_f64_e32 v[40:41], s[16:17], v[20:21]
	v_add_f64_e32 v[26:27], v[42:43], v[38:39]
	v_add_f64_e64 v[38:39], v[42:43], -v[38:39]
	s_delay_alu instid0(VALU_DEP_3) | instskip(SKIP_1) | instid1(VALU_DEP_1)
	v_fma_f64 v[40:41], v[22:23], s[14:15], v[40:41]
	v_mul_f64_e32 v[22:23], s[18:19], v[22:23]
	v_fma_f64 v[42:43], v[20:21], s[14:15], v[22:23]
	v_fma_f64 v[20:21], v[12:13], s[18:19], v[49:50]
	;; [unrolled: 1-line block ×4, first 2 shown]
	s_delay_alu instid0(VALU_DEP_3) | instskip(NEXT) | instid1(VALU_DEP_3)
	v_fma_f64 v[20:21], v[16:17], s[2:3], v[20:21]
	v_fma_f64 v[49:50], v[16:17], s[12:13], v[49:50]
	s_delay_alu instid0(VALU_DEP_3) | instskip(SKIP_1) | instid1(VALU_DEP_4)
	v_fma_f64 v[22:23], v[18:19], s[12:13], v[22:23]
	v_fma_f64 v[16:17], v[16:17], s[18:19], v[79:80]
	;; [unrolled: 1-line block ×3, first 2 shown]
	s_delay_alu instid0(VALU_DEP_4)
	v_fma_f64 v[49:50], v[44:45], s[14:15], v[49:50]
	v_fma_f64 v[44:45], v[14:15], s[18:19], v[51:52]
	;; [unrolled: 1-line block ×4, first 2 shown]
	v_add_f64_e32 v[20:21], v[65:66], v[40:41]
	v_add_f64_e64 v[40:41], v[65:66], -v[40:41]
	v_fma_f64 v[65:66], v[86:87], s[16:17], v[67:68]
	v_fma_f64 v[44:45], v[18:19], s[2:3], v[44:45]
	;; [unrolled: 1-line block ×4, first 2 shown]
	v_add_f64_e32 v[22:23], v[69:70], v[42:43]
	v_add_f64_e64 v[42:43], v[69:70], -v[42:43]
	v_fma_f64 v[69:70], v[166:167], s[18:19], v[148:149]
	v_fma_f64 v[65:66], v[63:64], s[12:13], v[65:66]
	;; [unrolled: 1-line block ×10, first 2 shown]
	v_add_f64_e32 v[57:58], v[154:155], v[168:169]
	s_delay_alu instid0(VALU_DEP_4) | instskip(NEXT) | instid1(VALU_DEP_4)
	v_mul_f64_e32 v[44:45], s[20:21], v[46:47]
	v_fma_f64 v[65:66], v[73:74], s[2:3], v[65:66]
	s_delay_alu instid0(VALU_DEP_1) | instskip(SKIP_1) | instid1(VALU_DEP_2)
	v_fma_f64 v[55:56], v[55:56], s[14:15], v[65:66]
	v_fma_f64 v[65:66], v[112:113], s[18:19], v[124:125]
	;; [unrolled: 1-line block ×3, first 2 shown]
	v_mul_f64_e32 v[44:45], s[20:21], v[55:56]
	s_delay_alu instid0(VALU_DEP_3) | instskip(NEXT) | instid1(VALU_DEP_2)
	v_fma_f64 v[65:66], v[126:127], s[12:13], v[65:66]
	v_fma_f64 v[55:56], v[46:47], s[18:19], v[44:45]
	s_delay_alu instid0(VALU_DEP_4) | instskip(SKIP_1) | instid1(VALU_DEP_3)
	v_add_f64_e32 v[44:45], v[49:50], v[51:52]
	v_add_f64_e64 v[49:50], v[49:50], -v[51:52]
	v_add_f64_e32 v[46:47], v[9:10], v[55:56]
	v_add_f64_e64 v[51:52], v[9:10], -v[55:56]
	v_fma_f64 v[9:10], v[63:64], s[18:19], v[83:84]
	v_fma_f64 v[55:56], v[73:74], s[16:17], v[88:89]
	;; [unrolled: 1-line block ×3, first 2 shown]
	s_delay_alu instid0(VALU_DEP_3) | instskip(NEXT) | instid1(VALU_DEP_3)
	v_fma_f64 v[9:10], v[86:87], s[12:13], v[9:10]
	v_fma_f64 v[55:56], v[90:91], s[2:3], v[55:56]
	s_delay_alu instid0(VALU_DEP_3) | instskip(NEXT) | instid1(VALU_DEP_3)
	v_fma_f64 v[73:74], v[112:113], s[12:13], v[73:74]
	v_fma_f64 v[9:10], v[59:60], s[14:15], v[9:10]
	;; [unrolled: 1-line block ×3, first 2 shown]
	s_delay_alu instid0(VALU_DEP_4) | instskip(SKIP_4) | instid1(VALU_DEP_3)
	v_fma_f64 v[15:16], v[61:62], s[14:15], v[55:56]
	v_add_f64_e32 v[55:56], v[146:147], v[140:141]
	v_fma_f64 v[61:62], v[152:153], s[18:19], v[162:163]
	v_mul_f64_e32 v[11:12], s[22:23], v[9:10]
	v_fma_f64 v[59:60], v[166:167], s[2:3], v[59:60]
	v_fma_f64 v[61:62], v[164:165], s[12:13], v[61:62]
	s_delay_alu instid0(VALU_DEP_3) | instskip(SKIP_1) | instid1(VALU_DEP_4)
	v_fma_f64 v[13:14], v[15:16], s[2:3], v[11:12]
	v_mul_f64_e32 v[11:12], s[22:23], v[15:16]
	v_fma_f64 v[59:60], v[55:56], s[14:15], v[59:60]
	s_delay_alu instid0(VALU_DEP_4) | instskip(NEXT) | instid1(VALU_DEP_3)
	v_fma_f64 v[61:62], v[57:58], s[14:15], v[61:62]
	v_fma_f64 v[15:16], v[9:10], s[12:13], v[11:12]
	s_delay_alu instid0(VALU_DEP_3)
	v_mul_f64_e32 v[63:64], s[24:25], v[59:60]
	v_mul_f64_e32 v[59:60], s[12:13], v[59:60]
	v_add_f64_e32 v[9:10], v[17:18], v[13:14]
	v_add_f64_e64 v[13:14], v[17:18], -v[13:14]
	v_add_f64_e32 v[17:18], v[106:107], v[128:129]
	v_add_f64_e32 v[11:12], v[53:54], v[15:16]
	v_add_f64_e64 v[15:16], v[53:54], -v[15:16]
	v_add_f64_e32 v[53:54], v[114:115], v[132:133]
	v_fma_f64 v[63:64], v[61:62], s[2:3], v[63:64]
	v_fma_f64 v[59:60], v[61:62], s[24:25], v[59:60]
	;; [unrolled: 1-line block ×3, first 2 shown]
	s_delay_alu instid0(VALU_DEP_4) | instskip(NEXT) | instid1(VALU_DEP_2)
	v_fma_f64 v[65:66], v[53:54], s[14:15], v[65:66]
	v_fma_f64 v[61:62], v[122:123], s[2:3], v[61:62]
	s_delay_alu instid0(VALU_DEP_2) | instskip(SKIP_2) | instid1(VALU_DEP_4)
	v_add_f64_e32 v[82:83], v[65:66], v[59:60]
	v_add_f64_e64 v[86:87], v[65:66], -v[59:60]
	v_add_f64_e32 v[65:66], v[158:159], v[170:171]
	v_fma_f64 v[61:62], v[17:18], s[14:15], v[61:62]
	v_add_f64_e32 v[59:60], v[110:111], v[130:131]
	s_delay_alu instid0(VALU_DEP_3) | instskip(NEXT) | instid1(VALU_DEP_3)
	v_fma_f64 v[67:68], v[65:66], s[14:15], v[67:68]
	v_add_f64_e32 v[80:81], v[61:62], v[63:64]
	v_add_f64_e64 v[84:85], v[61:62], -v[63:64]
	v_add_f64_e32 v[63:64], v[150:151], v[142:143]
	v_add_f64_e32 v[61:62], v[118:119], v[134:135]
	v_mul_f64_e32 v[71:72], s[16:17], v[67:68]
	s_delay_alu instid0(VALU_DEP_3) | instskip(NEXT) | instid1(VALU_DEP_3)
	v_fma_f64 v[69:70], v[63:64], s[14:15], v[69:70]
	v_fma_f64 v[73:74], v[61:62], s[14:15], v[73:74]
	s_delay_alu instid0(VALU_DEP_2) | instskip(SKIP_1) | instid1(VALU_DEP_1)
	v_fma_f64 v[71:72], v[69:70], s[14:15], v[71:72]
	v_mul_f64_e32 v[69:70], s[18:19], v[69:70]
	v_fma_f64 v[67:68], v[67:68], s[14:15], v[69:70]
	v_fma_f64 v[69:70], v[122:123], s[18:19], v[108:109]
	s_delay_alu instid0(VALU_DEP_2) | instskip(SKIP_2) | instid1(VALU_DEP_4)
	v_add_f64_e32 v[90:91], v[73:74], v[67:68]
	v_add_f64_e64 v[94:95], v[73:74], -v[67:68]
	v_fma_f64 v[67:68], v[166:167], s[16:17], v[148:149]
	v_fma_f64 v[69:70], v[104:105], s[2:3], v[69:70]
	s_delay_alu instid0(VALU_DEP_2) | instskip(NEXT) | instid1(VALU_DEP_2)
	v_fma_f64 v[67:68], v[144:145], s[12:13], v[67:68]
	v_fma_f64 v[69:70], v[59:60], s[14:15], v[69:70]
	s_delay_alu instid0(VALU_DEP_2) | instskip(SKIP_1) | instid1(VALU_DEP_3)
	v_fma_f64 v[63:64], v[63:64], s[14:15], v[67:68]
	v_fma_f64 v[67:68], v[164:165], s[18:19], v[156:157]
	v_add_f64_e32 v[88:89], v[69:70], v[71:72]
	v_add_f64_e64 v[92:93], v[69:70], -v[71:72]
	s_delay_alu instid0(VALU_DEP_3) | instskip(NEXT) | instid1(VALU_DEP_1)
	v_fma_f64 v[67:68], v[152:153], s[2:3], v[67:68]
	v_fma_f64 v[65:66], v[65:66], s[14:15], v[67:68]
	;; [unrolled: 1-line block ×3, first 2 shown]
	s_delay_alu instid0(VALU_DEP_1) | instskip(NEXT) | instid1(VALU_DEP_1)
	v_fma_f64 v[67:68], v[104:105], s[12:13], v[67:68]
	v_fma_f64 v[59:60], v[59:60], s[14:15], v[67:68]
	;; [unrolled: 1-line block ×3, first 2 shown]
	s_delay_alu instid0(VALU_DEP_1) | instskip(NEXT) | instid1(VALU_DEP_1)
	v_fma_f64 v[67:68], v[112:113], s[2:3], v[67:68]
	v_fma_f64 v[61:62], v[61:62], s[14:15], v[67:68]
	v_mul_f64_e32 v[67:68], s[20:21], v[63:64]
	s_delay_alu instid0(VALU_DEP_1) | instskip(SKIP_1) | instid1(VALU_DEP_2)
	v_fma_f64 v[67:68], v[65:66], s[16:17], v[67:68]
	v_mul_f64_e32 v[65:66], s[20:21], v[65:66]
	v_add_f64_e32 v[96:97], v[59:60], v[67:68]
	s_delay_alu instid0(VALU_DEP_2) | instskip(SKIP_3) | instid1(VALU_DEP_4)
	v_fma_f64 v[63:64], v[63:64], s[18:19], v[65:66]
	v_add_f64_e64 v[100:101], v[59:60], -v[67:68]
	v_fma_f64 v[59:60], v[144:145], s[18:19], v[160:161]
	v_fma_f64 v[65:66], v[112:113], s[16:17], v[124:125]
	v_add_f64_e32 v[98:99], v[61:62], v[63:64]
	v_add_f64_e64 v[102:103], v[61:62], -v[63:64]
	v_fma_f64 v[61:62], v[152:153], s[16:17], v[162:163]
	v_fma_f64 v[59:60], v[166:167], s[12:13], v[59:60]
	;; [unrolled: 1-line block ×4, first 2 shown]
	s_delay_alu instid0(VALU_DEP_4) | instskip(NEXT) | instid1(VALU_DEP_4)
	v_fma_f64 v[61:62], v[164:165], s[2:3], v[61:62]
	v_fma_f64 v[55:56], v[55:56], s[14:15], v[59:60]
	s_delay_alu instid0(VALU_DEP_4) | instskip(NEXT) | instid1(VALU_DEP_4)
	v_fma_f64 v[63:64], v[122:123], s[12:13], v[63:64]
	v_fma_f64 v[53:54], v[53:54], s[14:15], v[65:66]
	s_delay_alu instid0(VALU_DEP_4) | instskip(NEXT) | instid1(VALU_DEP_4)
	v_fma_f64 v[57:58], v[57:58], s[14:15], v[61:62]
	v_mul_f64_e32 v[59:60], s[22:23], v[55:56]
	s_delay_alu instid0(VALU_DEP_4) | instskip(NEXT) | instid1(VALU_DEP_2)
	v_fma_f64 v[17:18], v[17:18], s[14:15], v[63:64]
	v_fma_f64 v[59:60], v[57:58], s[2:3], v[59:60]
	v_mul_f64_e32 v[57:58], s[22:23], v[57:58]
	s_delay_alu instid0(VALU_DEP_2) | instskip(NEXT) | instid1(VALU_DEP_2)
	v_add_f64_e32 v[104:105], v[17:18], v[59:60]
	v_fma_f64 v[55:56], v[55:56], s[12:13], v[57:58]
	v_add_f64_e64 v[108:109], v[17:18], -v[59:60]
	v_mul_lo_u16 v17, v0, 10
	s_delay_alu instid0(VALU_DEP_1) | instskip(NEXT) | instid1(VALU_DEP_1)
	v_and_b32_e32 v17, 0xffff, v17
	v_lshlrev_b32_e32 v133, 4, v17
	ds_store_b128 v133, v[1:4]
	ds_store_b128 v133, v[5:8] offset:80
	ds_store_b128 v133, v[24:27] offset:16
	;; [unrolled: 1-line block ×9, first 2 shown]
	v_add_co_u32 v1, null, 0xc8, v212
	s_delay_alu instid0(VALU_DEP_1) | instskip(NEXT) | instid1(VALU_DEP_1)
	v_mul_u32_u24_e32 v2, 10, v1
	v_lshlrev_b32_e32 v124, 4, v2
	v_and_b32_e32 v2, 0xff, v0
	s_delay_alu instid0(VALU_DEP_1) | instskip(SKIP_2) | instid1(VALU_DEP_3)
	v_mul_lo_u16 v2, 0xcd, v2
	v_add_f64_e32 v[106:107], v[53:54], v[55:56]
	v_add_f64_e64 v[110:111], v[53:54], -v[55:56]
	v_lshrrev_b16 v41, 11, v2
	ds_store_b128 v124, v[28:31]
	ds_store_b128 v124, v[80:83] offset:16
	ds_store_b128 v124, v[88:91] offset:32
	ds_store_b128 v124, v[96:99] offset:48
	ds_store_b128 v124, v[104:107] offset:64
	ds_store_b128 v124, v[32:35] offset:80
	ds_store_b128 v124, v[84:87] offset:96
	ds_store_b128 v124, v[92:95] offset:112
	ds_store_b128 v124, v[100:103] offset:128
	ds_store_b128 v124, v[108:111] offset:144
	v_mul_lo_u16 v2, v41, 10
	global_wb scope:SCOPE_SE
	s_wait_dscnt 0x0
	s_barrier_signal -1
	s_barrier_wait -1
	global_inv scope:SCOPE_SE
	v_sub_nc_u16 v2, v0, v2
	ds_load_b128 v[196:199], v48 offset:3200
	ds_load_b128 v[24:27], v48 offset:35200
	ds_load_b128 v[44:47], v48 offset:41600
	v_and_b32_e32 v40, 0xff, v2
	ds_load_b128 v[2:5], v48 offset:6400
	v_mad_co_u64_u32 v[6:7], null, 0x90, v40, s[10:11]
	global_load_b128 v[10:13], v[6:7], off
	s_wait_loadcnt_dscnt 0x0
	v_mul_f64_e32 v[8:9], v[4:5], v[12:13]
	scratch_store_b128 off, v[10:13], off offset:360 ; 16-byte Folded Spill
	v_fma_f64 v[38:39], v[2:3], v[10:11], -v[8:9]
	v_mul_f64_e32 v[2:3], v[2:3], v[12:13]
	s_delay_alu instid0(VALU_DEP_1)
	v_fma_f64 v[22:23], v[4:5], v[10:11], v[2:3]
	global_load_b128 v[10:13], v[6:7], off offset:16
	ds_load_b128 v[2:5], v48 offset:12800
	s_wait_loadcnt_dscnt 0x0
	v_mul_f64_e32 v[8:9], v[4:5], v[12:13]
	scratch_store_b128 off, v[10:13], off offset:376 ; 16-byte Folded Spill
	v_fma_f64 v[32:33], v[2:3], v[10:11], -v[8:9]
	v_mul_f64_e32 v[2:3], v[2:3], v[12:13]
	s_delay_alu instid0(VALU_DEP_1)
	v_fma_f64 v[34:35], v[4:5], v[10:11], v[2:3]
	global_load_b128 v[10:13], v[6:7], off offset:32
	ds_load_b128 v[2:5], v48 offset:19200
	;; [unrolled: 9-line block ×5, first 2 shown]
	s_wait_loadcnt_dscnt 0x0
	v_mul_f64_e32 v[8:9], v[4:5], v[12:13]
	scratch_store_b128 off, v[10:13], off offset:440 ; 16-byte Folded Spill
	v_fma_f64 v[120:121], v[2:3], v[10:11], -v[8:9]
	v_mul_f64_e32 v[2:3], v[2:3], v[12:13]
	s_delay_alu instid0(VALU_DEP_2) | instskip(NEXT) | instid1(VALU_DEP_2)
	v_add_f64_e64 v[116:117], v[92:93], -v[120:121]
	v_fma_f64 v[122:123], v[4:5], v[10:11], v[2:3]
	global_load_b128 v[10:13], v[6:7], off offset:96
	ds_load_b128 v[2:5], v48 offset:44800
	v_add_f64_e64 v[106:107], v[94:95], -v[122:123]
	s_wait_loadcnt_dscnt 0x0
	v_mul_f64_e32 v[8:9], v[4:5], v[12:13]
	scratch_store_b128 off, v[10:13], off offset:456 ; 16-byte Folded Spill
	v_fma_f64 v[140:141], v[2:3], v[10:11], -v[8:9]
	v_mul_f64_e32 v[2:3], v[2:3], v[12:13]
	s_delay_alu instid0(VALU_DEP_2) | instskip(NEXT) | instid1(VALU_DEP_2)
	v_add_f64_e64 v[73:74], v[96:97], -v[140:141]
	v_fma_f64 v[142:143], v[4:5], v[10:11], v[2:3]
	global_load_b128 v[10:13], v[6:7], off offset:112
	ds_load_b128 v[2:5], v48 offset:51200
	v_add_f64_e32 v[69:70], v[98:99], v[142:143]
	v_add_f64_e64 v[79:80], v[98:99], -v[142:143]
	s_delay_alu instid0(VALU_DEP_2)
	v_fma_f64 v[69:70], v[69:70], -0.5, v[22:23]
	s_wait_loadcnt_dscnt 0x0
	v_mul_f64_e32 v[8:9], v[4:5], v[12:13]
	scratch_store_b128 off, v[10:13], off offset:472 ; 16-byte Folded Spill
	v_fma_f64 v[144:145], v[2:3], v[10:11], -v[8:9]
	v_mul_f64_e32 v[2:3], v[2:3], v[12:13]
	s_delay_alu instid0(VALU_DEP_2) | instskip(NEXT) | instid1(VALU_DEP_2)
	v_add_f64_e64 v[114:115], v[32:33], -v[144:145]
	v_fma_f64 v[146:147], v[4:5], v[10:11], v[2:3]
	global_load_b128 v[8:11], v[6:7], off offset:128
	ds_load_b128 v[2:5], v48 offset:57600
	s_wait_loadcnt_dscnt 0x0
	v_mul_f64_e32 v[6:7], v[4:5], v[10:11]
	s_delay_alu instid0(VALU_DEP_1) | instskip(SKIP_1) | instid1(VALU_DEP_2)
	v_fma_f64 v[172:173], v[2:3], v[8:9], -v[6:7]
	v_mul_f64_e32 v[2:3], v[2:3], v[10:11]
	v_add_f64_e64 v[71:72], v[28:29], -v[172:173]
	s_delay_alu instid0(VALU_DEP_2) | instskip(SKIP_1) | instid1(VALU_DEP_1)
	v_fma_f64 v[174:175], v[4:5], v[8:9], v[2:3]
	v_and_b32_e32 v2, 0xffff, v1
	v_mul_u32_u24_e32 v2, 0xcccd, v2
	s_delay_alu instid0(VALU_DEP_1) | instskip(NEXT) | instid1(VALU_DEP_1)
	v_lshrrev_b32_e32 v42, 19, v2
	v_mul_lo_u16 v2, v42, 10
	s_delay_alu instid0(VALU_DEP_1) | instskip(NEXT) | instid1(VALU_DEP_1)
	v_sub_nc_u16 v43, v1, v2
	v_mul_lo_u16 v2, 0x90, v43
	s_delay_alu instid0(VALU_DEP_1) | instskip(NEXT) | instid1(VALU_DEP_1)
	v_and_b32_e32 v2, 0xffff, v2
	v_add_co_u32 v18, s26, s10, v2
	s_delay_alu instid0(VALU_DEP_1)
	v_add_co_ci_u32_e64 v19, null, s11, 0, s26
	ds_load_b128 v[2:5], v48 offset:9600
	v_add_f64_e64 v[67:68], v[174:175], -v[142:143]
	v_fma_f64 v[75:76], v[71:72], s[18:19], v[69:70]
	s_clause 0x1
	global_load_b128 v[102:105], v[18:19], off offset:48
	global_load_b128 v[12:15], v[18:19], off offset:16
	scratch_store_b128 off, v[8:11], off offset:488 ; 16-byte Folded Spill
	s_clause 0x5
	global_load_b128 v[8:11], v[18:19], off
	global_load_b128 v[108:111], v[18:19], off offset:64
	global_load_b128 v[129:132], v[18:19], off offset:80
	;; [unrolled: 1-line block ×5, first 2 shown]
	v_add_f64_e64 v[77:78], v[86:87], -v[174:175]
	v_fma_f64 v[75:76], v[73:74], s[12:13], v[75:76]
	s_wait_loadcnt 0x6
	scratch_store_b128 off, v[12:15], off offset:520 ; 16-byte Folded Spill
	s_wait_loadcnt_dscnt 0x500
	v_mul_f64_e32 v[6:7], v[4:5], v[10:11]
	scratch_store_b128 off, v[8:11], off offset:504 ; 16-byte Folded Spill
	s_wait_loadcnt 0x4
	v_mul_f64_e32 v[20:21], v[24:25], v[110:111]
	v_fma_f64 v[36:37], v[2:3], v[8:9], -v[6:7]
	v_mul_f64_e32 v[2:3], v[2:3], v[10:11]
	s_delay_alu instid0(VALU_DEP_3) | instskip(NEXT) | instid1(VALU_DEP_2)
	v_fma_f64 v[20:21], v[26:27], v[108:109], v[20:21]
	v_fma_f64 v[2:3], v[4:5], v[8:9], v[2:3]
	ds_load_b128 v[8:11], v48 offset:16000
	s_wait_dscnt 0x0
	v_mul_f64_e32 v[4:5], v[10:11], v[14:15]
	s_delay_alu instid0(VALU_DEP_1)
	v_fma_f64 v[6:7], v[8:9], v[12:13], -v[4:5]
	v_mul_f64_e32 v[4:5], v[8:9], v[14:15]
	global_load_b128 v[14:17], v[18:19], off offset:32
	v_add_f64_e32 v[59:60], v[196:197], v[6:7]
	v_fma_f64 v[8:9], v[10:11], v[12:13], v[4:5]
	ds_load_b128 v[10:13], v48 offset:22400
	v_add_f64_e32 v[61:62], v[198:199], v[8:9]
	s_wait_loadcnt_dscnt 0x0
	v_mul_f64_e32 v[4:5], v[12:13], v[16:17]
	scratch_store_b128 off, v[14:17], off offset:536 ; 16-byte Folded Spill
	v_fma_f64 v[4:5], v[10:11], v[14:15], -v[4:5]
	v_mul_f64_e32 v[10:11], v[10:11], v[16:17]
	s_delay_alu instid0(VALU_DEP_2) | instskip(NEXT) | instid1(VALU_DEP_2)
	v_add_f64_e32 v[63:64], v[36:37], v[4:5]
	v_fma_f64 v[10:11], v[12:13], v[14:15], v[10:11]
	ds_load_b128 v[14:17], v48 offset:28800
	s_wait_dscnt 0x0
	v_mul_f64_e32 v[12:13], v[16:17], v[104:105]
	v_add_f64_e32 v[65:66], v[2:3], v[10:11]
	s_delay_alu instid0(VALU_DEP_2) | instskip(SKIP_1) | instid1(VALU_DEP_3)
	v_fma_f64 v[12:13], v[14:15], v[102:103], -v[12:13]
	v_mul_f64_e32 v[14:15], v[14:15], v[104:105]
	v_add_f64_e32 v[65:66], v[65:66], v[20:21]
	s_delay_alu instid0(VALU_DEP_3) | instskip(NEXT) | instid1(VALU_DEP_3)
	v_add_f64_e32 v[59:60], v[59:60], v[12:13]
	v_fma_f64 v[14:15], v[16:17], v[102:103], v[14:15]
	v_mul_f64_e32 v[16:17], v[26:27], v[110:111]
	v_mul_f64_e32 v[26:27], v[44:45], v[131:132]
	s_delay_alu instid0(VALU_DEP_3) | instskip(NEXT) | instid1(VALU_DEP_3)
	v_add_f64_e32 v[61:62], v[61:62], v[14:15]
	v_fma_f64 v[16:17], v[24:25], v[108:109], -v[16:17]
	v_mul_f64_e32 v[24:25], v[46:47], v[131:132]
	s_delay_alu instid0(VALU_DEP_4) | instskip(NEXT) | instid1(VALU_DEP_3)
	v_fma_f64 v[26:27], v[46:47], v[129:130], v[26:27]
	v_add_f64_e32 v[63:64], v[63:64], v[16:17]
	s_delay_alu instid0(VALU_DEP_3)
	v_fma_f64 v[24:25], v[44:45], v[129:130], -v[24:25]
	ds_load_b128 v[44:47], v48 offset:48000
	v_add_f64_e32 v[61:62], v[61:62], v[26:27]
	v_add_f64_e32 v[55:56], v[14:15], v[26:27]
	s_wait_dscnt 0x0
	v_mul_f64_e32 v[30:31], v[46:47], v[127:128]
	v_add_f64_e32 v[59:60], v[59:60], v[24:25]
	s_delay_alu instid0(VALU_DEP_3) | instskip(NEXT) | instid1(VALU_DEP_3)
	v_fma_f64 v[55:56], v[55:56], -0.5, v[198:199]
	v_fma_f64 v[30:31], v[44:45], v[125:126], -v[30:31]
	v_mul_f64_e32 v[44:45], v[44:45], v[127:128]
	s_delay_alu instid0(VALU_DEP_2) | instskip(NEXT) | instid1(VALU_DEP_2)
	v_add_f64_e32 v[63:64], v[63:64], v[30:31]
	v_fma_f64 v[84:85], v[46:47], v[125:126], v[44:45]
	ds_load_b128 v[44:47], v48 offset:54400
	s_wait_dscnt 0x0
	v_mul_f64_e32 v[49:50], v[46:47], v[178:179]
	v_add_f64_e32 v[65:66], v[65:66], v[84:85]
	s_delay_alu instid0(VALU_DEP_2) | instskip(SKIP_2) | instid1(VALU_DEP_3)
	v_fma_f64 v[88:89], v[44:45], v[176:177], -v[49:50]
	v_mul_f64_e32 v[44:45], v[44:45], v[178:179]
	v_add_f64_e32 v[49:50], v[22:23], v[86:87]
	v_add_f64_e32 v[59:60], v[59:60], v[88:89]
	s_delay_alu instid0(VALU_DEP_3)
	v_fma_f64 v[90:91], v[46:47], v[176:177], v[44:45]
	ds_load_b128 v[44:47], v48 offset:60800
	v_add_f64_e32 v[49:50], v[49:50], v[98:99]
	s_wait_dscnt 0x0
	v_mul_f64_e32 v[18:19], v[46:47], v[182:183]
	v_add_f64_e32 v[57:58], v[8:9], v[90:91]
	v_add_f64_e32 v[61:62], v[61:62], v[90:91]
	s_delay_alu instid0(VALU_DEP_4) | instskip(NEXT) | instid1(VALU_DEP_4)
	v_add_f64_e32 v[49:50], v[49:50], v[142:143]
	v_fma_f64 v[184:185], v[44:45], v[180:181], -v[18:19]
	v_mul_f64_e32 v[18:19], v[44:45], v[182:183]
	v_fma_f64 v[57:58], v[57:58], -0.5, v[198:199]
	s_delay_alu instid0(VALU_DEP_4) | instskip(NEXT) | instid1(VALU_DEP_4)
	v_add_f64_e32 v[49:50], v[49:50], v[174:175]
	v_add_f64_e32 v[63:64], v[63:64], v[184:185]
	s_delay_alu instid0(VALU_DEP_4)
	v_fma_f64 v[186:187], v[46:47], v[180:181], v[18:19]
	v_add_f64_e32 v[18:19], v[92:93], v[120:121]
	ds_load_b128 v[44:47], v48
	global_wb scope:SCOPE_SE
	s_wait_storecnt_dscnt 0x0
	s_barrier_signal -1
	s_barrier_wait -1
	global_inv scope:SCOPE_SE
	v_add_f64_e64 v[200:201], v[59:60], -v[63:64]
	v_add_f64_e32 v[65:66], v[65:66], v[186:187]
	v_fma_f64 v[188:189], v[18:19], -0.5, v[44:45]
	v_add_f64_e32 v[18:19], v[32:33], v[144:145]
	s_delay_alu instid0(VALU_DEP_3) | instskip(SKIP_1) | instid1(VALU_DEP_3)
	v_add_f64_e32 v[198:199], v[61:62], v[65:66]
	v_add_f64_e64 v[202:203], v[61:62], -v[65:66]
	v_fma_f64 v[192:193], v[18:19], -0.5, v[44:45]
	v_add_f64_e32 v[18:19], v[94:95], v[122:123]
	v_add_f64_e64 v[61:62], v[144:145], -v[120:121]
	v_add_f64_e64 v[65:66], v[172:173], -v[140:141]
	s_delay_alu instid0(VALU_DEP_3) | instskip(SKIP_1) | instid1(VALU_DEP_2)
	v_fma_f64 v[190:191], v[18:19], -0.5, v[46:47]
	v_add_f64_e32 v[18:19], v[34:35], v[146:147]
	v_fma_f64 v[118:119], v[114:115], s[18:19], v[190:191]
	s_delay_alu instid0(VALU_DEP_2) | instskip(SKIP_4) | instid1(VALU_DEP_4)
	v_fma_f64 v[194:195], v[18:19], -0.5, v[46:47]
	v_add_f64_e32 v[18:19], v[44:45], v[32:33]
	v_add_f64_e32 v[44:45], v[46:47], v[34:35]
	;; [unrolled: 1-line block ×3, first 2 shown]
	v_fma_f64 v[118:119], v[116:117], s[12:13], v[118:119]
	v_add_f64_e32 v[18:19], v[18:19], v[92:93]
	s_delay_alu instid0(VALU_DEP_4) | instskip(NEXT) | instid1(VALU_DEP_4)
	v_add_f64_e32 v[44:45], v[44:45], v[94:95]
	v_add_f64_e32 v[46:47], v[46:47], v[96:97]
	s_delay_alu instid0(VALU_DEP_3) | instskip(NEXT) | instid1(VALU_DEP_3)
	v_add_f64_e32 v[18:19], v[18:19], v[120:121]
	v_add_f64_e32 v[44:45], v[44:45], v[122:123]
	s_delay_alu instid0(VALU_DEP_3) | instskip(NEXT) | instid1(VALU_DEP_3)
	;; [unrolled: 3-line block ×3, first 2 shown]
	v_add_f64_e32 v[53:54], v[44:45], v[146:147]
	v_add_f64_e32 v[51:52], v[46:47], v[172:173]
	s_delay_alu instid0(VALU_DEP_2) | instskip(NEXT) | instid1(VALU_DEP_2)
	v_add_f64_e32 v[46:47], v[53:54], v[49:50]
	v_add_f64_e32 v[44:45], v[18:19], v[51:52]
	v_add_f64_e64 v[51:52], v[18:19], -v[51:52]
	v_add_f64_e64 v[53:54], v[53:54], -v[49:50]
	v_add_f64_e32 v[18:19], v[12:13], v[24:25]
	v_add_f64_e32 v[49:50], v[6:7], v[88:89]
	s_delay_alu instid0(VALU_DEP_2) | instskip(NEXT) | instid1(VALU_DEP_2)
	v_fma_f64 v[18:19], v[18:19], -0.5, v[196:197]
	v_fma_f64 v[49:50], v[49:50], -0.5, v[196:197]
	v_add_f64_e32 v[196:197], v[59:60], v[63:64]
	v_add_f64_e64 v[59:60], v[32:33], -v[92:93]
	v_add_f64_e64 v[63:64], v[146:147], -v[122:123]
	v_add_f64_e64 v[32:33], v[92:93], -v[32:33]
	v_add_f64_e64 v[92:93], v[122:123], -v[146:147]
	s_delay_alu instid0(VALU_DEP_4) | instskip(SKIP_1) | instid1(VALU_DEP_1)
	v_add_f64_e32 v[59:60], v[59:60], v[61:62]
	v_add_f64_e64 v[61:62], v[34:35], -v[94:95]
	v_add_f64_e32 v[61:62], v[61:62], v[63:64]
	v_add_f64_e64 v[63:64], v[28:29], -v[96:97]
	s_delay_alu instid0(VALU_DEP_2) | instskip(NEXT) | instid1(VALU_DEP_2)
	v_fma_f64 v[118:119], v[61:62], s[14:15], v[118:119]
	v_add_f64_e32 v[63:64], v[63:64], v[65:66]
	v_add_f64_e64 v[65:66], v[86:87], -v[98:99]
	s_delay_alu instid0(VALU_DEP_1) | instskip(SKIP_3) | instid1(VALU_DEP_4)
	v_add_f64_e32 v[65:66], v[65:66], v[67:68]
	v_add_f64_e32 v[67:68], v[96:97], v[140:141]
	v_add_f64_e64 v[96:97], v[96:97], -v[28:29]
	v_add_f64_e32 v[28:29], v[28:29], v[172:173]
	v_fma_f64 v[75:76], v[65:66], s[14:15], v[75:76]
	s_delay_alu instid0(VALU_DEP_4) | instskip(NEXT) | instid1(VALU_DEP_3)
	v_fma_f64 v[67:68], v[67:68], -0.5, v[38:39]
	v_fma_f64 v[28:29], v[28:29], -0.5, v[38:39]
	s_delay_alu instid0(VALU_DEP_3) | instskip(NEXT) | instid1(VALU_DEP_3)
	v_mul_f64_e32 v[100:101], s[2:3], v[75:76]
	v_fma_f64 v[81:82], v[77:78], s[16:17], v[67:68]
	s_delay_alu instid0(VALU_DEP_1) | instskip(NEXT) | instid1(VALU_DEP_1)
	v_fma_f64 v[81:82], v[79:80], s[2:3], v[81:82]
	v_fma_f64 v[81:82], v[63:64], s[14:15], v[81:82]
	s_delay_alu instid0(VALU_DEP_1) | instskip(SKIP_1) | instid1(VALU_DEP_1)
	v_fma_f64 v[100:101], v[81:82], s[24:25], v[100:101]
	v_mul_f64_e32 v[81:82], s[12:13], v[81:82]
	v_fma_f64 v[75:76], v[75:76], s[24:25], v[81:82]
	v_add_f64_e64 v[81:82], v[34:35], -v[146:147]
	v_add_f64_e64 v[34:35], v[94:95], -v[34:35]
	;; [unrolled: 1-line block ×3, first 2 shown]
	v_add_f64_e32 v[86:87], v[86:87], v[174:175]
	v_add_f64_e64 v[98:99], v[142:143], -v[174:175]
	v_add_f64_e32 v[206:207], v[118:119], v[75:76]
	v_fma_f64 v[112:113], v[81:82], s[16:17], v[188:189]
	v_add_f64_e64 v[210:211], v[118:119], -v[75:76]
	v_add_f64_e64 v[75:76], v[120:121], -v[144:145]
	v_fma_f64 v[22:23], v[86:87], -0.5, v[22:23]
	v_add_f64_e32 v[86:87], v[34:35], v[92:93]
	v_add_f64_e32 v[98:99], v[94:95], v[98:99]
	v_fma_f64 v[34:35], v[79:80], s[18:19], v[28:29]
	v_fma_f64 v[28:29], v[79:80], s[16:17], v[28:29]
	;; [unrolled: 1-line block ×3, first 2 shown]
	v_add_f64_e32 v[75:76], v[32:33], v[75:76]
	v_fma_f64 v[32:33], v[73:74], s[16:17], v[22:23]
	v_fma_f64 v[22:23], v[73:74], s[18:19], v[22:23]
	;; [unrolled: 1-line block ×7, first 2 shown]
	s_delay_alu instid0(VALU_DEP_3) | instskip(SKIP_4) | instid1(VALU_DEP_3)
	v_add_f64_e32 v[204:205], v[112:113], v[100:101]
	v_add_f64_e64 v[208:209], v[112:113], -v[100:101]
	v_add_f64_e64 v[100:101], v[140:141], -v[172:173]
	v_fma_f64 v[32:33], v[98:99], s[14:15], v[32:33]
	v_fma_f64 v[22:23], v[98:99], s[14:15], v[22:23]
	v_add_f64_e32 v[96:97], v[96:97], v[100:101]
	s_delay_alu instid0(VALU_DEP_3) | instskip(NEXT) | instid1(VALU_DEP_2)
	v_mul_f64_e32 v[38:39], s[16:17], v[32:33]
	v_fma_f64 v[34:35], v[96:97], s[14:15], v[34:35]
	v_fma_f64 v[28:29], v[96:97], s[14:15], v[28:29]
	s_delay_alu instid0(VALU_DEP_2) | instskip(SKIP_1) | instid1(VALU_DEP_1)
	v_fma_f64 v[38:39], v[34:35], s[14:15], v[38:39]
	v_mul_f64_e32 v[34:35], s[18:19], v[34:35]
	v_fma_f64 v[94:95], v[32:33], s[14:15], v[34:35]
	v_fma_f64 v[32:33], v[106:107], s[18:19], v[192:193]
	;; [unrolled: 1-line block ×3, first 2 shown]
	s_delay_alu instid0(VALU_DEP_2) | instskip(NEXT) | instid1(VALU_DEP_2)
	v_fma_f64 v[32:33], v[81:82], s[2:3], v[32:33]
	v_fma_f64 v[34:35], v[114:115], s[12:13], v[34:35]
	s_delay_alu instid0(VALU_DEP_2) | instskip(NEXT) | instid1(VALU_DEP_2)
	v_fma_f64 v[92:93], v[75:76], s[14:15], v[32:33]
	v_fma_f64 v[100:101], v[86:87], s[14:15], v[34:35]
	s_delay_alu instid0(VALU_DEP_2) | instskip(SKIP_2) | instid1(VALU_DEP_4)
	v_add_f64_e32 v[32:33], v[92:93], v[38:39]
	v_add_f64_e64 v[92:93], v[92:93], -v[38:39]
	v_fma_f64 v[38:39], v[106:107], s[16:17], v[192:193]
	v_add_f64_e32 v[34:35], v[100:101], v[94:95]
	v_add_f64_e64 v[94:95], v[100:101], -v[94:95]
	v_add_f64_e64 v[100:101], v[12:13], -v[24:25]
	s_delay_alu instid0(VALU_DEP_4) | instskip(NEXT) | instid1(VALU_DEP_1)
	v_fma_f64 v[38:39], v[81:82], s[12:13], v[38:39]
	v_fma_f64 v[38:39], v[75:76], s[14:15], v[38:39]
	;; [unrolled: 1-line block ×3, first 2 shown]
	s_delay_alu instid0(VALU_DEP_1) | instskip(NEXT) | instid1(VALU_DEP_1)
	v_fma_f64 v[75:76], v[114:115], s[2:3], v[75:76]
	v_fma_f64 v[75:76], v[86:87], s[14:15], v[75:76]
	v_mul_f64_e32 v[86:87], s[20:21], v[28:29]
	s_delay_alu instid0(VALU_DEP_1) | instskip(SKIP_1) | instid1(VALU_DEP_2)
	v_fma_f64 v[86:87], v[22:23], s[16:17], v[86:87]
	v_mul_f64_e32 v[22:23], s[20:21], v[22:23]
	v_add_f64_e32 v[96:97], v[38:39], v[86:87]
	s_delay_alu instid0(VALU_DEP_2)
	v_fma_f64 v[22:23], v[28:29], s[18:19], v[22:23]
	v_add_f64_e64 v[120:121], v[38:39], -v[86:87]
	v_fma_f64 v[28:29], v[81:82], s[18:19], v[188:189]
	v_fma_f64 v[38:39], v[114:115], s[16:17], v[190:191]
	v_add_f64_e64 v[86:87], v[6:7], -v[88:89]
	v_add_f64_e32 v[98:99], v[75:76], v[22:23]
	v_add_f64_e64 v[122:123], v[75:76], -v[22:23]
	v_fma_f64 v[22:23], v[77:78], s[18:19], v[67:68]
	v_fma_f64 v[67:68], v[71:72], s[16:17], v[69:70]
	;; [unrolled: 1-line block ×4, first 2 shown]
	v_add_f64_e64 v[71:72], v[10:11], -v[186:187]
	v_fma_f64 v[106:107], v[86:87], s[18:19], v[55:56]
	v_fma_f64 v[22:23], v[79:80], s[12:13], v[22:23]
	;; [unrolled: 1-line block ×5, first 2 shown]
	v_add_f64_e64 v[73:74], v[20:21], -v[84:85]
	v_add_f64_e64 v[79:80], v[14:15], -v[26:27]
	v_fma_f64 v[106:107], v[100:101], s[12:13], v[106:107]
	v_fma_f64 v[22:23], v[63:64], s[14:15], v[22:23]
	;; [unrolled: 1-line block ×3, first 2 shown]
	v_add_f64_e32 v[63:64], v[20:21], v[84:85]
	v_add_f64_e64 v[65:66], v[4:5], -v[184:185]
	v_add_f64_e64 v[67:68], v[16:17], -v[30:31]
	v_mul_f64_e32 v[61:62], s[22:23], v[22:23]
	s_delay_alu instid0(VALU_DEP_4) | instskip(NEXT) | instid1(VALU_DEP_2)
	v_fma_f64 v[63:64], v[63:64], -0.5, v[2:3]
	v_fma_f64 v[61:62], v[59:60], s[2:3], v[61:62]
	v_mul_f64_e32 v[59:60], s[22:23], v[59:60]
	s_delay_alu instid0(VALU_DEP_3) | instskip(NEXT) | instid1(VALU_DEP_3)
	v_fma_f64 v[69:70], v[65:66], s[18:19], v[63:64]
	v_add_f64_e32 v[140:141], v[28:29], v[61:62]
	s_delay_alu instid0(VALU_DEP_3)
	v_fma_f64 v[22:23], v[22:23], s[12:13], v[59:60]
	v_add_f64_e64 v[144:145], v[28:29], -v[61:62]
	v_add_f64_e64 v[28:29], v[88:89], -v[24:25]
	;; [unrolled: 1-line block ×4, first 2 shown]
	v_fma_f64 v[69:70], v[67:68], s[12:13], v[69:70]
	v_add_f64_e32 v[142:143], v[38:39], v[22:23]
	v_add_f64_e64 v[146:147], v[38:39], -v[22:23]
	v_add_f64_e64 v[22:23], v[6:7], -v[12:13]
	v_add_f64_e64 v[38:39], v[90:91], -v[26:27]
	v_add_f64_e64 v[6:7], v[12:13], -v[6:7]
	v_add_f64_e64 v[12:13], v[24:25], -v[88:89]
	v_add_f64_e64 v[24:25], v[84:85], -v[186:187]
	v_add_f64_e32 v[22:23], v[22:23], v[28:29]
	v_add_f64_e64 v[28:29], v[8:9], -v[14:15]
	s_delay_alu instid0(VALU_DEP_4) | instskip(NEXT) | instid1(VALU_DEP_2)
	v_add_f64_e32 v[12:13], v[6:7], v[12:13]
	v_add_f64_e32 v[28:29], v[28:29], v[38:39]
	v_add_f64_e64 v[38:39], v[4:5], -v[16:17]
	s_delay_alu instid0(VALU_DEP_2) | instskip(NEXT) | instid1(VALU_DEP_2)
	v_fma_f64 v[106:107], v[28:29], s[14:15], v[106:107]
	v_add_f64_e32 v[38:39], v[38:39], v[59:60]
	v_add_f64_e64 v[59:60], v[10:11], -v[20:21]
	v_add_f64_e64 v[20:21], v[20:21], -v[10:11]
	v_add_f64_e32 v[10:11], v[10:11], v[186:187]
	s_delay_alu instid0(VALU_DEP_3)
	v_add_f64_e32 v[59:60], v[59:60], v[61:62]
	v_add_f64_e32 v[61:62], v[16:17], v[30:31]
	v_add_f64_e64 v[16:17], v[16:17], -v[4:5]
	v_add_f64_e32 v[4:5], v[4:5], v[184:185]
	v_fma_f64 v[10:11], v[10:11], -0.5, v[2:3]
	v_add_f64_e32 v[20:21], v[20:21], v[24:25]
	v_fma_f64 v[69:70], v[59:60], s[14:15], v[69:70]
	v_fma_f64 v[61:62], v[61:62], -0.5, v[36:37]
	v_fma_f64 v[24:25], v[4:5], -0.5, v[36:37]
	v_fma_f64 v[2:3], v[67:68], s[16:17], v[10:11]
	v_fma_f64 v[10:11], v[67:68], s[18:19], v[10:11]
	v_mul_f64_e32 v[77:78], s[2:3], v[69:70]
	v_fma_f64 v[75:76], v[71:72], s[16:17], v[61:62]
	v_fma_f64 v[4:5], v[73:74], s[18:19], v[24:25]
	;; [unrolled: 1-line block ×4, first 2 shown]
	s_delay_alu instid0(VALU_DEP_4) | instskip(NEXT) | instid1(VALU_DEP_4)
	v_fma_f64 v[75:76], v[73:74], s[2:3], v[75:76]
	v_fma_f64 v[4:5], v[71:72], s[2:3], v[4:5]
	s_delay_alu instid0(VALU_DEP_4) | instskip(NEXT) | instid1(VALU_DEP_4)
	v_fma_f64 v[2:3], v[20:21], s[14:15], v[2:3]
	v_fma_f64 v[10:11], v[20:21], s[14:15], v[10:11]
	;; [unrolled: 1-line block ×4, first 2 shown]
	s_delay_alu instid0(VALU_DEP_4) | instskip(NEXT) | instid1(VALU_DEP_3)
	v_mul_f64_e32 v[6:7], s[16:17], v[2:3]
	v_fma_f64 v[20:21], v[73:74], s[12:13], v[20:21]
	s_delay_alu instid0(VALU_DEP_3) | instskip(SKIP_1) | instid1(VALU_DEP_3)
	v_fma_f64 v[77:78], v[75:76], s[24:25], v[77:78]
	v_mul_f64_e32 v[75:76], s[12:13], v[75:76]
	v_fma_f64 v[20:21], v[38:39], s[14:15], v[20:21]
	s_delay_alu instid0(VALU_DEP_2)
	v_fma_f64 v[69:70], v[69:70], s[24:25], v[75:76]
	v_add_f64_e64 v[75:76], v[8:9], -v[90:91]
	v_add_f64_e64 v[8:9], v[14:15], -v[8:9]
	v_add_f64_e64 v[14:15], v[26:27], -v[90:91]
	v_add_f64_e64 v[26:27], v[30:31], -v[184:185]
	v_add_f64_e32 v[174:175], v[106:107], v[69:70]
	v_fma_f64 v[81:82], v[75:76], s[16:17], v[18:19]
	v_fma_f64 v[18:19], v[75:76], s[18:19], v[18:19]
	v_add_f64_e32 v[14:15], v[8:9], v[14:15]
	v_add_f64_e32 v[16:17], v[16:17], v[26:27]
	v_add_f64_e64 v[190:191], v[106:107], -v[69:70]
	v_fma_f64 v[81:82], v[79:80], s[2:3], v[81:82]
	v_fma_f64 v[18:19], v[79:80], s[12:13], v[18:19]
	s_delay_alu instid0(VALU_DEP_4) | instskip(NEXT) | instid1(VALU_DEP_3)
	v_fma_f64 v[4:5], v[16:17], s[14:15], v[4:5]
	v_fma_f64 v[81:82], v[22:23], s[14:15], v[81:82]
	s_delay_alu instid0(VALU_DEP_3) | instskip(NEXT) | instid1(VALU_DEP_3)
	v_fma_f64 v[18:19], v[22:23], s[14:15], v[18:19]
	v_fma_f64 v[6:7], v[4:5], s[14:15], v[6:7]
	v_mul_f64_e32 v[4:5], s[18:19], v[4:5]
	s_delay_alu instid0(VALU_DEP_4) | instskip(SKIP_1) | instid1(VALU_DEP_3)
	v_add_f64_e32 v[172:173], v[81:82], v[77:78]
	v_add_f64_e64 v[188:189], v[81:82], -v[77:78]
	v_fma_f64 v[8:9], v[2:3], s[14:15], v[4:5]
	v_fma_f64 v[2:3], v[79:80], s[18:19], v[49:50]
	;; [unrolled: 1-line block ×3, first 2 shown]
	s_delay_alu instid0(VALU_DEP_2) | instskip(NEXT) | instid1(VALU_DEP_2)
	v_fma_f64 v[2:3], v[75:76], s[2:3], v[2:3]
	v_fma_f64 v[4:5], v[86:87], s[12:13], v[4:5]
	s_delay_alu instid0(VALU_DEP_2) | instskip(NEXT) | instid1(VALU_DEP_2)
	v_fma_f64 v[26:27], v[12:13], s[14:15], v[2:3]
	v_fma_f64 v[30:31], v[14:15], s[14:15], v[4:5]
	s_delay_alu instid0(VALU_DEP_2) | instskip(SKIP_2) | instid1(VALU_DEP_4)
	v_add_f64_e32 v[2:3], v[26:27], v[6:7]
	v_add_f64_e64 v[6:7], v[26:27], -v[6:7]
	v_fma_f64 v[26:27], v[79:80], s[16:17], v[49:50]
	v_add_f64_e32 v[4:5], v[30:31], v[8:9]
	v_add_f64_e64 v[8:9], v[30:31], -v[8:9]
	s_delay_alu instid0(VALU_DEP_3) | instskip(NEXT) | instid1(VALU_DEP_1)
	v_fma_f64 v[26:27], v[75:76], s[12:13], v[26:27]
	v_fma_f64 v[26:27], v[12:13], s[14:15], v[26:27]
	;; [unrolled: 1-line block ×3, first 2 shown]
	s_delay_alu instid0(VALU_DEP_1) | instskip(NEXT) | instid1(VALU_DEP_1)
	v_fma_f64 v[12:13], v[86:87], s[2:3], v[12:13]
	v_fma_f64 v[30:31], v[14:15], s[14:15], v[12:13]
	;; [unrolled: 1-line block ×4, first 2 shown]
	s_delay_alu instid0(VALU_DEP_2) | instskip(NEXT) | instid1(VALU_DEP_2)
	v_fma_f64 v[12:13], v[71:72], s[12:13], v[12:13]
	v_fma_f64 v[24:25], v[67:68], s[2:3], v[24:25]
	s_delay_alu instid0(VALU_DEP_2) | instskip(NEXT) | instid1(VALU_DEP_2)
	v_fma_f64 v[12:13], v[16:17], s[14:15], v[12:13]
	v_fma_f64 v[22:23], v[59:60], s[14:15], v[24:25]
	v_mul_f64_e32 v[24:25], s[22:23], v[20:21]
	s_delay_alu instid0(VALU_DEP_3) | instskip(NEXT) | instid1(VALU_DEP_2)
	v_mul_f64_e32 v[14:15], s[20:21], v[12:13]
	v_fma_f64 v[24:25], v[22:23], s[2:3], v[24:25]
	v_mul_f64_e32 v[22:23], s[22:23], v[22:23]
	s_delay_alu instid0(VALU_DEP_3) | instskip(SKIP_1) | instid1(VALU_DEP_1)
	v_fma_f64 v[14:15], v[10:11], s[16:17], v[14:15]
	v_mul_f64_e32 v[10:11], s[20:21], v[10:11]
	v_fma_f64 v[16:17], v[12:13], s[18:19], v[10:11]
	s_delay_alu instid0(VALU_DEP_3) | instskip(SKIP_2) | instid1(VALU_DEP_4)
	v_add_f64_e32 v[10:11], v[26:27], v[14:15]
	v_add_f64_e64 v[14:15], v[26:27], -v[14:15]
	v_fma_f64 v[26:27], v[86:87], s[16:17], v[55:56]
	v_add_f64_e32 v[12:13], v[30:31], v[16:17]
	v_add_f64_e64 v[16:17], v[30:31], -v[16:17]
	s_delay_alu instid0(VALU_DEP_3) | instskip(NEXT) | instid1(VALU_DEP_1)
	v_fma_f64 v[26:27], v[100:101], s[2:3], v[26:27]
	v_fma_f64 v[26:27], v[28:29], s[14:15], v[26:27]
	;; [unrolled: 1-line block ×3, first 2 shown]
	v_add_f64_e32 v[20:21], v[18:19], v[24:25]
	v_add_f64_e64 v[24:25], v[18:19], -v[24:25]
	v_and_b32_e32 v18, 0xffff, v41
	s_delay_alu instid0(VALU_DEP_1) | instskip(NEXT) | instid1(VALU_DEP_1)
	v_mul_u32_u24_e32 v18, 0x64, v18
	v_add_lshl_u32 v135, v18, v40, 4
	v_mad_u16 v18, 0x64, v42, v43
	ds_store_b128 v135, v[44:47]
	ds_store_b128 v135, v[51:54] offset:800
	ds_store_b128 v135, v[204:207] offset:160
	ds_store_b128 v135, v[32:35] offset:320
	ds_store_b128 v135, v[96:99] offset:480
	ds_store_b128 v135, v[140:143] offset:640
	ds_store_b128 v135, v[208:211] offset:960
	ds_store_b128 v135, v[92:95] offset:1120
	ds_store_b128 v135, v[120:123] offset:1280
	ds_store_b128 v135, v[144:147] offset:1440
	v_and_b32_e32 v18, 0xffff, v18
	s_delay_alu instid0(VALU_DEP_1)
	v_lshlrev_b32_e32 v134, 4, v18
	v_add_f64_e32 v[22:23], v[26:27], v[28:29]
	v_add_f64_e64 v[26:27], v[26:27], -v[28:29]
	ds_store_b128 v134, v[196:199]
	ds_store_b128 v134, v[172:175] offset:160
	ds_store_b128 v134, v[2:5] offset:320
	;; [unrolled: 1-line block ×9, first 2 shown]
	v_add_nc_u32_e32 v2, 0xffffff9c, v212
	global_wb scope:SCOPE_SE
	s_wait_dscnt 0x0
	s_barrier_signal -1
	s_barrier_wait -1
	global_inv scope:SCOPE_SE
	v_cndmask_b32_e32 v55, v2, v212, vcc_lo
	ds_load_b128 v[56:59], v48 offset:3200
	v_mul_i32_i24_e32 v2, 0x90, v55
	v_mul_hi_i32_i24_e32 v3, 0x90, v55
	s_delay_alu instid0(VALU_DEP_2) | instskip(SKIP_1) | instid1(VALU_DEP_2)
	v_add_co_u32 v6, vcc_lo, s10, v2
	s_wait_alu 0xfffd
	v_add_co_ci_u32_e32 v7, vcc_lo, s11, v3, vcc_lo
	ds_load_b128 v[2:5], v48 offset:6400
	v_cmp_lt_u16_e32 vcc_lo, 0x63, v0
	s_clause 0x8
	global_load_b128 v[216:219], v[6:7], off offset:1440
	global_load_b128 v[220:223], v[6:7], off offset:1456
	;; [unrolled: 1-line block ×9, first 2 shown]
	s_wait_alu 0xfffd
	v_cndmask_b32_e64 v0, 0, 0x3e8, vcc_lo
	s_delay_alu instid0(VALU_DEP_1) | instskip(SKIP_2) | instid1(VALU_DEP_1)
	v_add_lshl_u32 v136, v55, v0, 4
	s_wait_loadcnt_dscnt 0x800
	v_mul_f64_e32 v[8:9], v[4:5], v[218:219]
	v_fma_f64 v[12:13], v[2:3], v[216:217], -v[8:9]
	v_mul_f64_e32 v[2:3], v[2:3], v[218:219]
	s_delay_alu instid0(VALU_DEP_1) | instskip(SKIP_3) | instid1(VALU_DEP_1)
	v_fma_f64 v[8:9], v[4:5], v[216:217], v[2:3]
	ds_load_b128 v[2:5], v48 offset:12800
	s_wait_loadcnt_dscnt 0x700
	v_mul_f64_e32 v[10:11], v[4:5], v[222:223]
	v_fma_f64 v[86:87], v[2:3], v[220:221], -v[10:11]
	v_mul_f64_e32 v[2:3], v[2:3], v[222:223]
	s_delay_alu instid0(VALU_DEP_1) | instskip(SKIP_3) | instid1(VALU_DEP_1)
	v_fma_f64 v[88:89], v[4:5], v[220:221], v[2:3]
	ds_load_b128 v[2:5], v48 offset:19200
	;; [unrolled: 7-line block ×4, first 2 shown]
	s_wait_loadcnt_dscnt 0x400
	v_mul_f64_e32 v[10:11], v[4:5], v[238:239]
	v_fma_f64 v[146:147], v[2:3], v[236:237], -v[10:11]
	v_mul_f64_e32 v[2:3], v[2:3], v[238:239]
	s_delay_alu instid0(VALU_DEP_2) | instskip(NEXT) | instid1(VALU_DEP_2)
	v_add_f64_e64 v[114:115], v[146:147], -v[94:95]
	v_fma_f64 v[144:145], v[4:5], v[236:237], v[2:3]
	ds_load_b128 v[2:5], v48 offset:38400
	s_wait_loadcnt_dscnt 0x300
	v_mul_f64_e32 v[10:11], v[4:5], v[234:235]
	v_add_f64_e64 v[118:119], v[144:145], -v[92:93]
	s_delay_alu instid0(VALU_DEP_2) | instskip(SKIP_1) | instid1(VALU_DEP_2)
	v_fma_f64 v[172:173], v[2:3], v[232:233], -v[10:11]
	v_mul_f64_e32 v[2:3], v[2:3], v[234:235]
	v_add_f64_e64 v[100:101], v[140:141], -v[172:173]
	s_delay_alu instid0(VALU_DEP_2) | instskip(SKIP_4) | instid1(VALU_DEP_2)
	v_fma_f64 v[174:175], v[4:5], v[232:233], v[2:3]
	ds_load_b128 v[2:5], v48 offset:44800
	s_wait_loadcnt_dscnt 0x200
	v_mul_f64_e32 v[10:11], v[4:5], v[242:243]
	v_add_f64_e64 v[79:80], v[142:143], -v[174:175]
	v_fma_f64 v[186:187], v[2:3], v[240:241], -v[10:11]
	v_mul_f64_e32 v[2:3], v[2:3], v[242:243]
	s_delay_alu instid0(VALU_DEP_2) | instskip(NEXT) | instid1(VALU_DEP_2)
	v_add_f64_e64 v[53:54], v[146:147], -v[186:187]
	v_fma_f64 v[184:185], v[4:5], v[240:241], v[2:3]
	ds_load_b128 v[2:5], v48 offset:51200
	s_wait_loadcnt_dscnt 0x100
	v_mul_f64_e32 v[10:11], v[4:5], v[246:247]
	v_add_f64_e32 v[49:50], v[144:145], v[184:185]
	v_add_f64_e64 v[75:76], v[144:145], -v[184:185]
	s_delay_alu instid0(VALU_DEP_3) | instskip(SKIP_1) | instid1(VALU_DEP_4)
	v_fma_f64 v[188:189], v[2:3], v[244:245], -v[10:11]
	v_mul_f64_e32 v[2:3], v[2:3], v[246:247]
	v_fma_f64 v[49:50], v[49:50], -0.5, v[8:9]
	s_delay_alu instid0(VALU_DEP_3) | instskip(NEXT) | instid1(VALU_DEP_3)
	v_add_f64_e64 v[81:82], v[86:87], -v[188:189]
	v_fma_f64 v[190:191], v[4:5], v[244:245], v[2:3]
	ds_load_b128 v[2:5], v48 offset:57600
	s_wait_loadcnt_dscnt 0x0
	v_mul_f64_e32 v[6:7], v[4:5], v[250:251]
	v_add_f64_e64 v[77:78], v[88:89], -v[190:191]
	s_delay_alu instid0(VALU_DEP_2) | instskip(SKIP_1) | instid1(VALU_DEP_2)
	v_fma_f64 v[210:211], v[2:3], v[248:249], -v[6:7]
	v_mul_f64_e32 v[2:3], v[2:3], v[250:251]
	v_add_f64_e64 v[51:52], v[94:95], -v[210:211]
	s_delay_alu instid0(VALU_DEP_2) | instskip(SKIP_2) | instid1(VALU_DEP_2)
	v_fma_f64 v[208:209], v[4:5], v[248:249], v[2:3]
	v_lshrrev_b16 v2, 2, v1
	v_add_f64_e64 v[116:117], v[186:187], -v[210:211]
	v_and_b32_e32 v2, 0xffff, v2
	s_delay_alu instid0(VALU_DEP_1) | instskip(NEXT) | instid1(VALU_DEP_1)
	v_mul_u32_u24_e32 v2, 0x147b, v2
	v_lshrrev_b32_e32 v72, 17, v2
	s_delay_alu instid0(VALU_DEP_1) | instskip(NEXT) | instid1(VALU_DEP_1)
	v_mul_lo_u16 v2, 0x64, v72
	v_sub_nc_u16 v7, v1, v2
	s_delay_alu instid0(VALU_DEP_1) | instskip(SKIP_1) | instid1(VALU_DEP_2)
	v_mul_lo_u16 v1, 0x90, v7
	v_mad_u16 v0, 0x3e8, v72, v7
	v_and_b32_e32 v1, 0xffff, v1
	v_fma_f64 v[64:65], v[51:52], s[18:19], v[49:50]
	v_add_f64_e64 v[46:47], v[208:209], -v[184:185]
	v_add_f64_e64 v[73:74], v[92:93], -v[208:209]
	v_add_f64_e32 v[114:115], v[114:115], v[116:117]
	v_add_co_u32 v14, s26, s10, v1
	s_wait_alu 0xf1ff
	v_add_co_ci_u32_e64 v15, null, s11, 0, s26
	ds_load_b128 v[1:4], v48 offset:9600
	v_and_b32_e32 v0, 0xffff, v0
	s_clause 0x8
	global_load_b128 v[168:171], v[14:15], off offset:1440
	global_load_b128 v[156:159], v[14:15], off offset:1456
	;; [unrolled: 1-line block ×9, first 2 shown]
	v_fma_f64 v[64:65], v[53:54], s[12:13], v[64:65]
	s_wait_loadcnt_dscnt 0x800
	v_mul_f64_e32 v[5:6], v[3:4], v[170:171]
	s_wait_loadcnt 0x0
	scratch_store_b128 off, v[16:19], off offset:568 ; 16-byte Folded Spill
	v_fma_f64 v[84:85], v[1:2], v[168:169], -v[5:6]
	v_mul_f64_e32 v[1:2], v[1:2], v[170:171]
	s_delay_alu instid0(VALU_DEP_1) | instskip(SKIP_3) | instid1(VALU_DEP_1)
	v_fma_f64 v[90:91], v[3:4], v[168:169], v[1:2]
	ds_load_b128 v[1:4], v48 offset:16000
	s_wait_dscnt 0x0
	v_mul_f64_e32 v[5:6], v[3:4], v[158:159]
	v_fma_f64 v[96:97], v[1:2], v[156:157], -v[5:6]
	v_mul_f64_e32 v[1:2], v[1:2], v[158:159]
	s_delay_alu instid0(VALU_DEP_2) | instskip(NEXT) | instid1(VALU_DEP_2)
	v_add_f64_e32 v[36:37], v[56:57], v[96:97]
	v_fma_f64 v[98:99], v[3:4], v[156:157], v[1:2]
	ds_load_b128 v[1:4], v48 offset:22400
	s_wait_dscnt 0x0
	v_mul_f64_e32 v[5:6], v[3:4], v[254:255]
	v_add_f64_e32 v[38:39], v[58:59], v[98:99]
	s_delay_alu instid0(VALU_DEP_2) | instskip(SKIP_1) | instid1(VALU_DEP_2)
	v_fma_f64 v[122:123], v[1:2], v[252:253], -v[5:6]
	v_mul_f64_e32 v[1:2], v[1:2], v[254:255]
	v_add_f64_e32 v[40:41], v[84:85], v[122:123]
	s_delay_alu instid0(VALU_DEP_2) | instskip(SKIP_4) | instid1(VALU_DEP_2)
	v_fma_f64 v[120:121], v[3:4], v[252:253], v[1:2]
	ds_load_b128 v[1:4], v48 offset:28800
	s_wait_dscnt 0x0
	v_mul_f64_e32 v[5:6], v[3:4], v[162:163]
	v_add_f64_e32 v[44:45], v[90:91], v[120:121]
	v_fma_f64 v[192:193], v[1:2], v[160:161], -v[5:6]
	v_mul_f64_e32 v[1:2], v[1:2], v[162:163]
	s_delay_alu instid0(VALU_DEP_2) | instskip(NEXT) | instid1(VALU_DEP_2)
	v_add_f64_e32 v[36:37], v[36:37], v[192:193]
	v_fma_f64 v[194:195], v[3:4], v[160:161], v[1:2]
	ds_load_b128 v[1:4], v48 offset:35200
	s_wait_dscnt 0x0
	v_mul_f64_e32 v[5:6], v[3:4], v[166:167]
	v_add_f64_e32 v[38:39], v[38:39], v[194:195]
	s_delay_alu instid0(VALU_DEP_2) | instskip(SKIP_1) | instid1(VALU_DEP_2)
	v_fma_f64 v[198:199], v[1:2], v[164:165], -v[5:6]
	v_mul_f64_e32 v[1:2], v[1:2], v[166:167]
	v_add_f64_e32 v[40:41], v[40:41], v[198:199]
	s_delay_alu instid0(VALU_DEP_2) | instskip(SKIP_4) | instid1(VALU_DEP_2)
	v_fma_f64 v[196:197], v[3:4], v[164:165], v[1:2]
	ds_load_b128 v[1:4], v48 offset:41600
	s_wait_dscnt 0x0
	v_mul_f64_e32 v[5:6], v[3:4], v[154:155]
	v_add_f64_e32 v[44:45], v[44:45], v[196:197]
	v_fma_f64 v[200:201], v[1:2], v[152:153], -v[5:6]
	v_mul_f64_e32 v[1:2], v[1:2], v[154:155]
	s_delay_alu instid0(VALU_DEP_2) | instskip(NEXT) | instid1(VALU_DEP_2)
	v_add_f64_e32 v[36:37], v[36:37], v[200:201]
	v_fma_f64 v[202:203], v[3:4], v[152:153], v[1:2]
	ds_load_b128 v[1:4], v48 offset:48000
	s_wait_dscnt 0x0
	v_mul_f64_e32 v[5:6], v[3:4], v[214:215]
	v_add_f64_e32 v[38:39], v[38:39], v[202:203]
	v_add_f64_e32 v[32:33], v[194:195], v[202:203]
	s_delay_alu instid0(VALU_DEP_3) | instskip(SKIP_1) | instid1(VALU_DEP_3)
	v_fma_f64 v[206:207], v[1:2], v[212:213], -v[5:6]
	v_mul_f64_e32 v[1:2], v[1:2], v[214:215]
	v_fma_f64 v[32:33], v[32:33], -0.5, v[58:59]
	s_delay_alu instid0(VALU_DEP_3) | instskip(NEXT) | instid1(VALU_DEP_3)
	v_add_f64_e32 v[40:41], v[40:41], v[206:207]
	v_fma_f64 v[204:205], v[3:4], v[212:213], v[1:2]
	ds_load_b128 v[3:6], v48 offset:54400
	s_wait_dscnt 0x0
	v_mul_f64_e32 v[1:2], v[5:6], v[150:151]
	v_add_f64_e32 v[44:45], v[44:45], v[204:205]
	s_delay_alu instid0(VALU_DEP_2) | instskip(SKIP_1) | instid1(VALU_DEP_2)
	v_fma_f64 v[1:2], v[3:4], v[148:149], -v[1:2]
	v_mul_f64_e32 v[3:4], v[3:4], v[150:151]
	v_add_f64_e32 v[36:37], v[36:37], v[1:2]
	s_delay_alu instid0(VALU_DEP_2)
	v_fma_f64 v[10:11], v[5:6], v[148:149], v[3:4]
	ds_load_b128 v[3:6], v48 offset:60800
	s_wait_dscnt 0x0
	v_mul_f64_e32 v[14:15], v[5:6], v[18:19]
	v_add_f64_e32 v[34:35], v[98:99], v[10:11]
	v_add_f64_e32 v[38:39], v[38:39], v[10:11]
	s_delay_alu instid0(VALU_DEP_3) | instskip(SKIP_3) | instid1(VALU_DEP_4)
	v_fma_f64 v[42:43], v[3:4], v[16:17], -v[14:15]
	v_mul_f64_e32 v[3:4], v[3:4], v[18:19]
	v_add_f64_e32 v[14:15], v[140:141], v[172:173]
	v_fma_f64 v[34:35], v[34:35], -0.5, v[58:59]
	v_add_f64_e32 v[40:41], v[40:41], v[42:43]
	s_delay_alu instid0(VALU_DEP_4)
	v_fma_f64 v[20:21], v[5:6], v[16:17], v[3:4]
	ds_load_b128 v[3:6], v48
	v_add_f64_e32 v[16:17], v[8:9], v[92:93]
	global_wb scope:SCOPE_SE
	s_wait_storecnt_dscnt 0x0
	s_barrier_signal -1
	s_barrier_wait -1
	global_inv scope:SCOPE_SE
	v_fma_f64 v[18:19], v[14:15], -0.5, v[3:4]
	v_add_f64_e32 v[14:15], v[86:87], v[188:189]
	v_add_f64_e64 v[60:61], v[36:37], -v[40:41]
	v_add_f64_e32 v[44:45], v[44:45], v[20:21]
	v_add_f64_e32 v[16:17], v[16:17], v[144:145]
	s_delay_alu instid0(VALU_DEP_4)
	v_fma_f64 v[22:23], v[14:15], -0.5, v[3:4]
	v_add_f64_e32 v[14:15], v[142:143], v[174:175]
	v_add_f64_e32 v[3:4], v[3:4], v[86:87]
	;; [unrolled: 1-line block ×3, first 2 shown]
	v_add_f64_e64 v[62:63], v[38:39], -v[44:45]
	v_add_f64_e32 v[16:17], v[16:17], v[184:185]
	v_add_f64_e64 v[38:39], v[188:189], -v[172:173]
	v_add_f64_e64 v[44:45], v[210:211], -v[186:187]
	v_fma_f64 v[24:25], v[14:15], -0.5, v[5:6]
	v_add_f64_e32 v[14:15], v[88:89], v[190:191]
	v_add_f64_e32 v[3:4], v[3:4], v[140:141]
	;; [unrolled: 1-line block ×3, first 2 shown]
	s_delay_alu instid0(VALU_DEP_3) | instskip(SKIP_3) | instid1(VALU_DEP_3)
	v_fma_f64 v[26:27], v[14:15], -0.5, v[5:6]
	v_add_f64_e32 v[5:6], v[5:6], v[88:89]
	v_add_f64_e32 v[14:15], v[12:13], v[94:95]
	;; [unrolled: 1-line block ×4, first 2 shown]
	s_delay_alu instid0(VALU_DEP_3) | instskip(NEXT) | instid1(VALU_DEP_3)
	v_add_f64_e32 v[14:15], v[14:15], v[146:147]
	v_add_f64_e32 v[28:29], v[3:4], v[188:189]
	s_delay_alu instid0(VALU_DEP_3) | instskip(NEXT) | instid1(VALU_DEP_3)
	v_add_f64_e32 v[5:6], v[5:6], v[174:175]
	v_add_f64_e32 v[14:15], v[14:15], v[186:187]
	s_delay_alu instid0(VALU_DEP_2) | instskip(NEXT) | instid1(VALU_DEP_2)
	v_add_f64_e32 v[30:31], v[5:6], v[190:191]
	v_add_f64_e32 v[14:15], v[14:15], v[210:211]
	s_delay_alu instid0(VALU_DEP_2) | instskip(NEXT) | instid1(VALU_DEP_2)
	v_add_f64_e32 v[5:6], v[30:31], v[16:17]
	v_add_f64_e32 v[3:4], v[28:29], v[14:15]
	v_add_f64_e64 v[14:15], v[28:29], -v[14:15]
	v_add_f64_e64 v[16:17], v[30:31], -v[16:17]
	v_add_f64_e32 v[28:29], v[192:193], v[200:201]
	v_add_f64_e32 v[30:31], v[96:97], v[1:2]
	s_delay_alu instid0(VALU_DEP_2) | instskip(NEXT) | instid1(VALU_DEP_2)
	v_fma_f64 v[28:29], v[28:29], -0.5, v[56:57]
	v_fma_f64 v[30:31], v[30:31], -0.5, v[56:57]
	v_add_f64_e32 v[56:57], v[36:37], v[40:41]
	v_add_f64_e64 v[36:37], v[86:87], -v[140:141]
	v_add_f64_e64 v[40:41], v[190:191], -v[174:175]
	;; [unrolled: 1-line block ×4, first 2 shown]
	s_delay_alu instid0(VALU_DEP_4) | instskip(SKIP_2) | instid1(VALU_DEP_4)
	v_add_f64_e32 v[36:37], v[36:37], v[38:39]
	v_add_f64_e64 v[38:39], v[88:89], -v[142:143]
	v_add_f64_e64 v[88:89], v[142:143], -v[88:89]
	v_add_f64_e32 v[116:117], v[118:119], v[140:141]
	s_delay_alu instid0(VALU_DEP_3) | instskip(SKIP_2) | instid1(VALU_DEP_2)
	v_add_f64_e32 v[38:39], v[38:39], v[40:41]
	v_add_f64_e64 v[40:41], v[94:95], -v[146:147]
	v_add_f64_e32 v[94:95], v[94:95], v[210:211]
	v_add_f64_e32 v[40:41], v[40:41], v[44:45]
	v_add_f64_e64 v[44:45], v[92:93], -v[144:145]
	v_add_f64_e32 v[92:93], v[92:93], v[208:209]
	s_delay_alu instid0(VALU_DEP_2) | instskip(SKIP_1) | instid1(VALU_DEP_3)
	v_add_f64_e32 v[44:45], v[44:45], v[46:47]
	v_add_f64_e32 v[46:47], v[146:147], v[186:187]
	v_fma_f64 v[8:9], v[92:93], -0.5, v[8:9]
	s_delay_alu instid0(VALU_DEP_3) | instskip(NEXT) | instid1(VALU_DEP_3)
	v_fma_f64 v[64:65], v[44:45], s[14:15], v[64:65]
	v_fma_f64 v[46:47], v[46:47], -0.5, v[12:13]
	v_fma_f64 v[12:13], v[94:95], -0.5, v[12:13]
	s_delay_alu instid0(VALU_DEP_3) | instskip(NEXT) | instid1(VALU_DEP_3)
	v_mul_f64_e32 v[68:69], s[2:3], v[64:65]
	v_fma_f64 v[66:67], v[73:74], s[16:17], v[46:47]
	s_delay_alu instid0(VALU_DEP_1) | instskip(NEXT) | instid1(VALU_DEP_1)
	v_fma_f64 v[66:67], v[75:76], s[2:3], v[66:67]
	v_fma_f64 v[66:67], v[40:41], s[14:15], v[66:67]
	s_delay_alu instid0(VALU_DEP_1) | instskip(SKIP_1) | instid1(VALU_DEP_1)
	v_fma_f64 v[68:69], v[66:67], s[24:25], v[68:69]
	v_mul_f64_e32 v[66:67], s[12:13], v[66:67]
	v_fma_f64 v[70:71], v[64:65], s[24:25], v[66:67]
	v_fma_f64 v[64:65], v[77:78], s[16:17], v[18:19]
	;; [unrolled: 1-line block ×3, first 2 shown]
	s_delay_alu instid0(VALU_DEP_2) | instskip(NEXT) | instid1(VALU_DEP_2)
	v_fma_f64 v[64:65], v[79:80], s[2:3], v[64:65]
	v_fma_f64 v[66:67], v[100:101], s[12:13], v[66:67]
	s_delay_alu instid0(VALU_DEP_2) | instskip(NEXT) | instid1(VALU_DEP_2)
	v_fma_f64 v[106:107], v[36:37], s[14:15], v[64:65]
	v_fma_f64 v[112:113], v[38:39], s[14:15], v[66:67]
	s_delay_alu instid0(VALU_DEP_2) | instskip(SKIP_2) | instid1(VALU_DEP_4)
	v_add_f64_e32 v[64:65], v[106:107], v[68:69]
	v_add_f64_e64 v[68:69], v[106:107], -v[68:69]
	v_add_f64_e64 v[106:107], v[172:173], -v[188:189]
	v_add_f64_e32 v[66:67], v[112:113], v[70:71]
	v_add_f64_e64 v[70:71], v[112:113], -v[70:71]
	v_add_f64_e64 v[112:113], v[174:175], -v[190:191]
	s_delay_alu instid0(VALU_DEP_4) | instskip(SKIP_2) | instid1(VALU_DEP_4)
	v_add_f64_e32 v[106:107], v[86:87], v[106:107]
	v_fma_f64 v[86:87], v[53:54], s[16:17], v[8:9]
	v_fma_f64 v[8:9], v[53:54], s[18:19], v[8:9]
	v_add_f64_e32 v[112:113], v[88:89], v[112:113]
	v_fma_f64 v[88:89], v[75:76], s[18:19], v[12:13]
	v_fma_f64 v[12:13], v[75:76], s[16:17], v[12:13]
	;; [unrolled: 1-line block ×4, first 2 shown]
	s_delay_alu instid0(VALU_DEP_4) | instskip(NEXT) | instid1(VALU_DEP_4)
	v_fma_f64 v[88:89], v[73:74], s[2:3], v[88:89]
	v_fma_f64 v[12:13], v[73:74], s[12:13], v[12:13]
	s_delay_alu instid0(VALU_DEP_4) | instskip(NEXT) | instid1(VALU_DEP_4)
	v_fma_f64 v[86:87], v[116:117], s[14:15], v[86:87]
	v_fma_f64 v[8:9], v[116:117], s[14:15], v[8:9]
	;; [unrolled: 3-line block ×3, first 2 shown]
	s_delay_alu instid0(VALU_DEP_4) | instskip(NEXT) | instid1(VALU_DEP_1)
	v_mul_f64_e32 v[92:93], s[16:17], v[86:87]
	v_fma_f64 v[92:93], v[88:89], s[14:15], v[92:93]
	v_mul_f64_e32 v[88:89], s[18:19], v[88:89]
	s_delay_alu instid0(VALU_DEP_1) | instskip(SKIP_4) | instid1(VALU_DEP_4)
	v_fma_f64 v[94:95], v[86:87], s[14:15], v[88:89]
	v_fma_f64 v[86:87], v[79:80], s[18:19], v[22:23]
	;; [unrolled: 1-line block ×6, first 2 shown]
	s_delay_alu instid0(VALU_DEP_4) | instskip(NEXT) | instid1(VALU_DEP_4)
	v_fma_f64 v[22:23], v[77:78], s[12:13], v[22:23]
	v_fma_f64 v[88:89], v[81:82], s[12:13], v[88:89]
	s_delay_alu instid0(VALU_DEP_4) | instskip(NEXT) | instid1(VALU_DEP_4)
	v_fma_f64 v[26:27], v[81:82], s[2:3], v[26:27]
	v_fma_f64 v[118:119], v[106:107], s[14:15], v[86:87]
	s_delay_alu instid0(VALU_DEP_4) | instskip(SKIP_1) | instid1(VALU_DEP_4)
	v_fma_f64 v[22:23], v[106:107], s[14:15], v[22:23]
	v_mul_f64_e32 v[106:107], s[20:21], v[12:13]
	v_fma_f64 v[26:27], v[112:113], s[14:15], v[26:27]
	v_fma_f64 v[140:141], v[112:113], s[14:15], v[88:89]
	v_add_f64_e32 v[86:87], v[118:119], v[92:93]
	v_add_f64_e64 v[92:93], v[118:119], -v[92:93]
	v_fma_f64 v[106:107], v[8:9], s[16:17], v[106:107]
	v_mul_f64_e32 v[8:9], s[20:21], v[8:9]
	v_add_f64_e32 v[88:89], v[140:141], v[94:95]
	v_add_f64_e64 v[94:95], v[140:141], -v[94:95]
	s_delay_alu instid0(VALU_DEP_4) | instskip(NEXT) | instid1(VALU_DEP_4)
	v_add_f64_e32 v[140:141], v[22:23], v[106:107]
	v_fma_f64 v[8:9], v[12:13], s[18:19], v[8:9]
	v_add_f64_e64 v[144:145], v[22:23], -v[106:107]
	v_fma_f64 v[22:23], v[51:52], s[16:17], v[49:50]
	v_fma_f64 v[12:13], v[77:78], s[18:19], v[18:19]
	v_fma_f64 v[18:19], v[81:82], s[16:17], v[24:25]
	v_add_f64_e64 v[77:78], v[192:193], -v[200:201]
	v_add_f64_e64 v[81:82], v[196:197], -v[120:121]
	v_add_f64_e32 v[142:143], v[26:27], v[8:9]
	v_add_f64_e64 v[146:147], v[26:27], -v[8:9]
	v_fma_f64 v[8:9], v[73:74], s[18:19], v[46:47]
	v_fma_f64 v[22:23], v[53:54], s[2:3], v[22:23]
	;; [unrolled: 1-line block ×4, first 2 shown]
	v_add_f64_e64 v[46:47], v[196:197], -v[204:205]
	v_add_f64_e64 v[53:54], v[194:195], -v[202:203]
	v_fma_f64 v[8:9], v[75:76], s[12:13], v[8:9]
	v_fma_f64 v[22:23], v[44:45], s[14:15], v[22:23]
	;; [unrolled: 1-line block ×4, first 2 shown]
	v_add_f64_e64 v[38:39], v[122:123], -v[42:43]
	v_add_f64_e64 v[44:45], v[120:121], -v[20:21]
	;; [unrolled: 1-line block ×3, first 2 shown]
	v_fma_f64 v[8:9], v[40:41], s[14:15], v[8:9]
	v_add_f64_e64 v[40:41], v[198:199], -v[206:207]
	s_delay_alu instid0(VALU_DEP_3) | instskip(NEXT) | instid1(VALU_DEP_3)
	v_fma_f64 v[79:80], v[75:76], s[18:19], v[32:33]
	v_mul_f64_e32 v[24:25], s[22:23], v[8:9]
	s_delay_alu instid0(VALU_DEP_2) | instskip(NEXT) | instid1(VALU_DEP_2)
	v_fma_f64 v[79:80], v[77:78], s[12:13], v[79:80]
	v_fma_f64 v[24:25], v[22:23], s[2:3], v[24:25]
	v_mul_f64_e32 v[22:23], s[22:23], v[22:23]
	s_delay_alu instid0(VALU_DEP_2) | instskip(NEXT) | instid1(VALU_DEP_2)
	v_add_f64_e32 v[172:173], v[12:13], v[24:25]
	v_fma_f64 v[8:9], v[8:9], s[12:13], v[22:23]
	v_add_f64_e64 v[184:185], v[12:13], -v[24:25]
	v_add_f64_e64 v[12:13], v[1:2], -v[200:201]
	;; [unrolled: 1-line block ×5, first 2 shown]
	v_add_f64_e32 v[174:175], v[18:19], v[8:9]
	v_add_f64_e64 v[186:187], v[18:19], -v[8:9]
	v_add_f64_e64 v[8:9], v[96:97], -v[192:193]
	;; [unrolled: 1-line block ×3, first 2 shown]
	ds_store_b128 v136, v[3:6]
	ds_store_b128 v136, v[14:17] offset:8000
	ds_store_b128 v136, v[64:67] offset:1600
	;; [unrolled: 1-line block ×9, first 2 shown]
	v_lshlrev_b32_e32 v92, 4, v0
	v_add_f64_e32 v[12:13], v[8:9], v[12:13]
	v_add_f64_e64 v[8:9], v[98:99], -v[194:195]
	s_delay_alu instid0(VALU_DEP_1) | instskip(SKIP_1) | instid1(VALU_DEP_2)
	v_add_f64_e32 v[18:19], v[8:9], v[18:19]
	v_add_f64_e64 v[8:9], v[122:123], -v[198:199]
	v_fma_f64 v[79:80], v[18:19], s[14:15], v[79:80]
	s_delay_alu instid0(VALU_DEP_2) | instskip(SKIP_1) | instid1(VALU_DEP_1)
	v_add_f64_e32 v[22:23], v[8:9], v[22:23]
	v_add_f64_e64 v[8:9], v[120:121], -v[196:197]
	v_add_f64_e32 v[24:25], v[8:9], v[24:25]
	v_add_f64_e32 v[8:9], v[198:199], v[206:207]
	s_delay_alu instid0(VALU_DEP_1) | instskip(SKIP_1) | instid1(VALU_DEP_2)
	v_fma_f64 v[26:27], v[8:9], -0.5, v[84:85]
	v_add_f64_e32 v[8:9], v[196:197], v[204:205]
	v_fma_f64 v[49:50], v[44:45], s[16:17], v[26:27]
	s_delay_alu instid0(VALU_DEP_2) | instskip(NEXT) | instid1(VALU_DEP_2)
	v_fma_f64 v[36:37], v[8:9], -0.5, v[90:91]
	v_fma_f64 v[49:50], v[46:47], s[2:3], v[49:50]
	s_delay_alu instid0(VALU_DEP_2) | instskip(NEXT) | instid1(VALU_DEP_2)
	v_fma_f64 v[8:9], v[38:39], s[18:19], v[36:37]
	v_fma_f64 v[49:50], v[22:23], s[14:15], v[49:50]
	s_delay_alu instid0(VALU_DEP_2) | instskip(NEXT) | instid1(VALU_DEP_1)
	v_fma_f64 v[8:9], v[40:41], s[12:13], v[8:9]
	v_fma_f64 v[8:9], v[24:25], s[14:15], v[8:9]
	s_delay_alu instid0(VALU_DEP_1) | instskip(NEXT) | instid1(VALU_DEP_1)
	v_mul_f64_e32 v[51:52], s[2:3], v[8:9]
	v_fma_f64 v[51:52], v[49:50], s[24:25], v[51:52]
	v_mul_f64_e32 v[49:50], s[12:13], v[49:50]
	s_delay_alu instid0(VALU_DEP_1) | instskip(SKIP_2) | instid1(VALU_DEP_3)
	v_fma_f64 v[8:9], v[8:9], s[24:25], v[49:50]
	v_add_f64_e64 v[49:50], v[98:99], -v[10:11]
	v_add_f64_e64 v[10:11], v[202:203], -v[10:11]
	v_add_f64_e32 v[190:191], v[79:80], v[8:9]
	s_delay_alu instid0(VALU_DEP_3)
	v_fma_f64 v[73:74], v[49:50], s[16:17], v[28:29]
	v_add_f64_e64 v[210:211], v[79:80], -v[8:9]
	v_add_f64_e64 v[8:9], v[192:193], -v[96:97]
	v_add_f64_e32 v[96:97], v[120:121], v[20:21]
	v_add_f64_e32 v[79:80], v[122:123], v[42:43]
	v_add_f64_e64 v[20:21], v[204:205], -v[20:21]
	v_add_f64_e64 v[42:43], v[206:207], -v[42:43]
	v_fma_f64 v[73:74], v[53:54], s[2:3], v[73:74]
	v_add_f64_e32 v[1:2], v[8:9], v[1:2]
	v_fma_f64 v[90:91], v[96:97], -0.5, v[90:91]
	v_fma_f64 v[79:80], v[79:80], -0.5, v[84:85]
	v_add_f64_e32 v[20:21], v[81:82], v[20:21]
	v_fma_f64 v[73:74], v[12:13], s[14:15], v[73:74]
	s_delay_alu instid0(VALU_DEP_4) | instskip(NEXT) | instid1(VALU_DEP_2)
	v_fma_f64 v[8:9], v[40:41], s[16:17], v[90:91]
	v_add_f64_e32 v[188:189], v[73:74], v[51:52]
	v_add_f64_e64 v[208:209], v[73:74], -v[51:52]
	v_add_f64_e64 v[51:52], v[194:195], -v[98:99]
	v_add_f64_e64 v[73:74], v[198:199], -v[122:123]
	v_fma_f64 v[8:9], v[38:39], s[12:13], v[8:9]
	s_delay_alu instid0(VALU_DEP_3) | instskip(SKIP_1) | instid1(VALU_DEP_4)
	v_add_f64_e32 v[51:52], v[51:52], v[10:11]
	v_fma_f64 v[10:11], v[46:47], s[18:19], v[79:80]
	v_add_f64_e32 v[42:43], v[73:74], v[42:43]
	s_delay_alu instid0(VALU_DEP_4) | instskip(NEXT) | instid1(VALU_DEP_3)
	v_fma_f64 v[8:9], v[20:21], s[14:15], v[8:9]
	v_fma_f64 v[10:11], v[44:45], s[2:3], v[10:11]
	s_delay_alu instid0(VALU_DEP_2) | instskip(NEXT) | instid1(VALU_DEP_2)
	v_mul_f64_e32 v[73:74], s[16:17], v[8:9]
	v_fma_f64 v[10:11], v[42:43], s[14:15], v[10:11]
	s_delay_alu instid0(VALU_DEP_1) | instskip(SKIP_1) | instid1(VALU_DEP_1)
	v_fma_f64 v[73:74], v[10:11], s[14:15], v[73:74]
	v_mul_f64_e32 v[10:11], s[18:19], v[10:11]
	v_fma_f64 v[81:82], v[8:9], s[14:15], v[10:11]
	v_fma_f64 v[8:9], v[53:54], s[18:19], v[30:31]
	;; [unrolled: 1-line block ×4, first 2 shown]
	s_delay_alu instid0(VALU_DEP_3) | instskip(NEXT) | instid1(VALU_DEP_3)
	v_fma_f64 v[8:9], v[49:50], s[2:3], v[8:9]
	v_fma_f64 v[30:31], v[49:50], s[12:13], v[30:31]
	s_delay_alu instid0(VALU_DEP_3) | instskip(NEXT) | instid1(VALU_DEP_3)
	v_fma_f64 v[10:11], v[75:76], s[12:13], v[10:11]
	v_fma_f64 v[83:84], v[1:2], s[14:15], v[8:9]
	s_delay_alu instid0(VALU_DEP_3)
	v_fma_f64 v[1:2], v[1:2], s[14:15], v[30:31]
	v_fma_f64 v[30:31], v[77:78], s[18:19], v[34:35]
	;; [unrolled: 1-line block ×4, first 2 shown]
	v_add_f64_e32 v[8:9], v[83:84], v[73:74]
	v_add_f64_e64 v[96:97], v[83:84], -v[73:74]
	v_fma_f64 v[30:31], v[75:76], s[2:3], v[30:31]
	v_fma_f64 v[34:35], v[44:45], s[12:13], v[34:35]
	v_add_f64_e32 v[10:11], v[98:99], v[81:82]
	v_add_f64_e64 v[98:99], v[98:99], -v[81:82]
	s_delay_alu instid0(VALU_DEP_4) | instskip(NEXT) | instid1(VALU_DEP_4)
	v_fma_f64 v[30:31], v[51:52], s[14:15], v[30:31]
	v_fma_f64 v[34:35], v[42:43], s[14:15], v[34:35]
	;; [unrolled: 1-line block ×3, first 2 shown]
	s_delay_alu instid0(VALU_DEP_1) | instskip(NEXT) | instid1(VALU_DEP_1)
	v_fma_f64 v[42:43], v[38:39], s[2:3], v[42:43]
	v_fma_f64 v[20:21], v[20:21], s[14:15], v[42:43]
	s_delay_alu instid0(VALU_DEP_4) | instskip(NEXT) | instid1(VALU_DEP_1)
	v_mul_f64_e32 v[42:43], s[20:21], v[34:35]
	v_fma_f64 v[42:43], v[20:21], s[16:17], v[42:43]
	v_mul_f64_e32 v[20:21], s[20:21], v[20:21]
	s_delay_alu instid0(VALU_DEP_2) | instskip(NEXT) | instid1(VALU_DEP_2)
	v_add_f64_e32 v[120:121], v[1:2], v[42:43]
	v_fma_f64 v[20:21], v[34:35], s[18:19], v[20:21]
	v_add_f64_e64 v[192:193], v[1:2], -v[42:43]
	v_fma_f64 v[1:2], v[44:45], s[18:19], v[26:27]
	v_fma_f64 v[26:27], v[75:76], s[16:17], v[32:33]
	s_delay_alu instid0(VALU_DEP_4)
	v_add_f64_e32 v[122:123], v[30:31], v[20:21]
	v_add_f64_e64 v[194:195], v[30:31], -v[20:21]
	v_fma_f64 v[20:21], v[49:50], s[18:19], v[28:29]
	v_fma_f64 v[28:29], v[38:39], s[16:17], v[36:37]
	;; [unrolled: 1-line block ×4, first 2 shown]
	s_delay_alu instid0(VALU_DEP_4) | instskip(NEXT) | instid1(VALU_DEP_4)
	v_fma_f64 v[20:21], v[53:54], s[12:13], v[20:21]
	v_fma_f64 v[28:29], v[40:41], s[2:3], v[28:29]
	s_delay_alu instid0(VALU_DEP_4) | instskip(NEXT) | instid1(VALU_DEP_4)
	v_fma_f64 v[1:2], v[22:23], s[14:15], v[1:2]
	v_fma_f64 v[18:19], v[18:19], s[14:15], v[26:27]
	;; [unrolled: 3-line block ×3, first 2 shown]
	s_delay_alu instid0(VALU_DEP_4) | instskip(NEXT) | instid1(VALU_DEP_1)
	v_mul_f64_e32 v[22:23], s[22:23], v[1:2]
	v_fma_f64 v[22:23], v[20:21], s[2:3], v[22:23]
	v_mul_f64_e32 v[20:21], s[22:23], v[20:21]
	s_delay_alu instid0(VALU_DEP_2) | instskip(NEXT) | instid1(VALU_DEP_2)
	v_add_f64_e32 v[196:197], v[12:13], v[22:23]
	v_fma_f64 v[1:2], v[1:2], s[12:13], v[20:21]
	v_add_f64_e64 v[200:201], v[12:13], -v[22:23]
	s_delay_alu instid0(VALU_DEP_2)
	v_add_f64_e32 v[198:199], v[18:19], v[1:2]
	v_add_f64_e64 v[202:203], v[18:19], -v[1:2]
	v_mad_co_u64_u32 v[0:1], null, v139, 48, s[10:11]
	ds_store_b128 v92, v[56:59]
	ds_store_b128 v92, v[188:191] offset:1600
	ds_store_b128 v92, v[8:11] offset:3200
	;; [unrolled: 1-line block ×9, first 2 shown]
	global_wb scope:SCOPE_SE
	s_wait_dscnt 0x0
	s_barrier_signal -1
	s_barrier_wait -1
	global_inv scope:SCOPE_SE
	s_clause 0x3
	global_load_b128 v[204:207], v[0:1], off offset:15840
	global_load_b128 v[208:211], v[0:1], off offset:15856
	;; [unrolled: 1-line block ×4, first 2 shown]
	ds_load_b128 v[2:5], v48 offset:16000
	s_clause 0x8
	global_load_b128 v[120:123], v[0:1], off offset:35040
	global_load_b128 v[140:143], v[0:1], off offset:35056
	;; [unrolled: 1-line block ×9, first 2 shown]
	s_wait_loadcnt_dscnt 0xc00
	v_mul_f64_e32 v[6:7], v[4:5], v[206:207]
	s_wait_loadcnt 0xa
	scratch_store_b128 off, v[20:23], off offset:552 ; 16-byte Folded Spill
	v_fma_f64 v[8:9], v[2:3], v[204:205], -v[6:7]
	v_mul_f64_e32 v[2:3], v[2:3], v[206:207]
	s_delay_alu instid0(VALU_DEP_1) | instskip(SKIP_3) | instid1(VALU_DEP_1)
	v_fma_f64 v[2:3], v[4:5], v[204:205], v[2:3]
	ds_load_b128 v[4:7], v48 offset:32000
	s_wait_dscnt 0x0
	v_mul_f64_e32 v[10:11], v[6:7], v[210:211]
	v_fma_f64 v[14:15], v[4:5], v[208:209], -v[10:11]
	v_mul_f64_e32 v[4:5], v[4:5], v[210:211]
	s_delay_alu instid0(VALU_DEP_1) | instskip(SKIP_3) | instid1(VALU_DEP_1)
	v_fma_f64 v[16:17], v[6:7], v[208:209], v[4:5]
	ds_load_b128 v[4:7], v48 offset:48000
	s_wait_dscnt 0x0
	v_mul_f64_e32 v[10:11], v[6:7], v[22:23]
	v_fma_f64 v[18:19], v[4:5], v[20:21], -v[10:11]
	v_mul_f64_e32 v[4:5], v[4:5], v[22:23]
	global_load_b128 v[22:25], v[0:1], off offset:25440
	ds_load_b128 v[10:13], v48 offset:19200
	v_add_f64_e64 v[18:19], v[8:9], -v[18:19]
	v_fma_f64 v[20:21], v[6:7], v[20:21], v[4:5]
	s_delay_alu instid0(VALU_DEP_1)
	v_add_f64_e64 v[20:21], v[2:3], -v[20:21]
	s_wait_loadcnt_dscnt 0x0
	v_mul_f64_e32 v[4:5], v[12:13], v[24:25]
	scratch_store_b128 off, v[22:25], off offset:344 ; 16-byte Folded Spill
	v_mul_f64_e32 v[6:7], v[10:11], v[24:25]
	global_load_b128 v[24:27], v[0:1], off offset:25456
	v_fma_f64 v[4:5], v[10:11], v[22:23], -v[4:5]
	v_fma_f64 v[6:7], v[12:13], v[22:23], v[6:7]
	ds_load_b128 v[10:13], v48 offset:35200
	s_wait_loadcnt_dscnt 0x0
	v_mul_f64_e32 v[22:23], v[12:13], v[26:27]
	scratch_store_b128 off, v[24:27], off offset:328 ; 16-byte Folded Spill
	v_fma_f64 v[22:23], v[10:11], v[24:25], -v[22:23]
	v_mul_f64_e32 v[10:11], v[10:11], v[26:27]
	s_delay_alu instid0(VALU_DEP_1) | instskip(SKIP_3) | instid1(VALU_DEP_1)
	v_fma_f64 v[24:25], v[12:13], v[24:25], v[10:11]
	ds_load_b128 v[10:13], v48 offset:51200
	s_wait_dscnt 0x0
	v_mul_f64_e32 v[26:27], v[12:13], v[98:99]
	v_fma_f64 v[26:27], v[10:11], v[96:97], -v[26:27]
	v_mul_f64_e32 v[10:11], v[10:11], v[98:99]
	s_delay_alu instid0(VALU_DEP_2) | instskip(NEXT) | instid1(VALU_DEP_2)
	v_add_f64_e64 v[26:27], v[4:5], -v[26:27]
	v_fma_f64 v[28:29], v[12:13], v[96:97], v[10:11]
	ds_load_b128 v[10:13], v48 offset:22400
	s_wait_dscnt 0x0
	v_mul_f64_e32 v[30:31], v[12:13], v[122:123]
	v_fma_f64 v[4:5], v[4:5], 2.0, -v[26:27]
	v_add_f64_e64 v[28:29], v[6:7], -v[28:29]
	s_delay_alu instid0(VALU_DEP_3) | instskip(SKIP_1) | instid1(VALU_DEP_3)
	v_fma_f64 v[30:31], v[10:11], v[120:121], -v[30:31]
	v_mul_f64_e32 v[10:11], v[10:11], v[122:123]
	v_fma_f64 v[6:7], v[6:7], 2.0, -v[28:29]
	s_delay_alu instid0(VALU_DEP_2) | instskip(SKIP_3) | instid1(VALU_DEP_1)
	v_fma_f64 v[32:33], v[12:13], v[120:121], v[10:11]
	ds_load_b128 v[10:13], v48 offset:38400
	s_wait_dscnt 0x0
	v_mul_f64_e32 v[34:35], v[12:13], v[142:143]
	v_fma_f64 v[34:35], v[10:11], v[140:141], -v[34:35]
	v_mul_f64_e32 v[10:11], v[10:11], v[142:143]
	s_delay_alu instid0(VALU_DEP_1) | instskip(SKIP_3) | instid1(VALU_DEP_1)
	v_fma_f64 v[36:37], v[12:13], v[140:141], v[10:11]
	ds_load_b128 v[10:13], v48 offset:54400
	s_wait_dscnt 0x0
	v_mul_f64_e32 v[38:39], v[12:13], v[146:147]
	v_fma_f64 v[38:39], v[10:11], v[144:145], -v[38:39]
	v_mul_f64_e32 v[10:11], v[10:11], v[146:147]
	s_delay_alu instid0(VALU_DEP_2) | instskip(NEXT) | instid1(VALU_DEP_2)
	v_add_f64_e64 v[38:39], v[30:31], -v[38:39]
	v_fma_f64 v[40:41], v[12:13], v[144:145], v[10:11]
	ds_load_b128 v[10:13], v48 offset:25600
	s_wait_dscnt 0x0
	v_mul_f64_e32 v[42:43], v[12:13], v[174:175]
	v_add_f64_e64 v[40:41], v[32:33], -v[40:41]
	s_delay_alu instid0(VALU_DEP_2) | instskip(SKIP_1) | instid1(VALU_DEP_1)
	v_fma_f64 v[42:43], v[10:11], v[172:173], -v[42:43]
	v_mul_f64_e32 v[10:11], v[10:11], v[174:175]
	v_fma_f64 v[44:45], v[12:13], v[172:173], v[10:11]
	ds_load_b128 v[10:13], v48 offset:41600
	s_wait_dscnt 0x0
	v_mul_f64_e32 v[46:47], v[12:13], v[186:187]
	s_delay_alu instid0(VALU_DEP_1) | instskip(SKIP_1) | instid1(VALU_DEP_1)
	v_fma_f64 v[46:47], v[10:11], v[184:185], -v[46:47]
	v_mul_f64_e32 v[10:11], v[10:11], v[186:187]
	v_fma_f64 v[49:50], v[12:13], v[184:185], v[10:11]
	ds_load_b128 v[10:13], v48 offset:57600
	s_wait_dscnt 0x0
	v_mul_f64_e32 v[51:52], v[12:13], v[190:191]
	s_delay_alu instid0(VALU_DEP_1) | instskip(SKIP_1) | instid1(VALU_DEP_2)
	v_fma_f64 v[51:52], v[10:11], v[188:189], -v[51:52]
	v_mul_f64_e32 v[10:11], v[10:11], v[190:191]
	v_add_f64_e64 v[51:52], v[42:43], -v[51:52]
	s_delay_alu instid0(VALU_DEP_2) | instskip(SKIP_4) | instid1(VALU_DEP_2)
	v_fma_f64 v[53:54], v[12:13], v[188:189], v[10:11]
	ds_load_b128 v[10:13], v48 offset:28800
	s_wait_dscnt 0x0
	v_mul_f64_e32 v[55:56], v[12:13], v[194:195]
	v_add_f64_e64 v[53:54], v[44:45], -v[53:54]
	v_fma_f64 v[71:72], v[10:11], v[192:193], -v[55:56]
	v_mul_f64_e32 v[10:11], v[10:11], v[194:195]
	s_delay_alu instid0(VALU_DEP_1) | instskip(SKIP_3) | instid1(VALU_DEP_1)
	v_fma_f64 v[73:74], v[12:13], v[192:193], v[10:11]
	ds_load_b128 v[10:13], v48 offset:44800
	s_wait_dscnt 0x0
	v_mul_f64_e32 v[55:56], v[12:13], v[198:199]
	v_fma_f64 v[67:68], v[10:11], v[196:197], -v[55:56]
	v_mul_f64_e32 v[10:11], v[10:11], v[198:199]
	s_delay_alu instid0(VALU_DEP_1) | instskip(SKIP_3) | instid1(VALU_DEP_1)
	v_fma_f64 v[69:70], v[12:13], v[196:197], v[10:11]
	ds_load_b128 v[10:13], v48 offset:60800
	s_wait_dscnt 0x0
	v_mul_f64_e32 v[0:1], v[12:13], v[202:203]
	v_fma_f64 v[0:1], v[10:11], v[200:201], -v[0:1]
	v_mul_f64_e32 v[10:11], v[10:11], v[202:203]
	s_delay_alu instid0(VALU_DEP_2) | instskip(NEXT) | instid1(VALU_DEP_2)
	v_add_f64_e64 v[0:1], v[71:72], -v[0:1]
	v_fma_f64 v[75:76], v[12:13], v[200:201], v[10:11]
	ds_load_b128 v[10:13], v48
	s_wait_dscnt 0x0
	v_add_f64_e64 v[14:15], v[10:11], -v[14:15]
	v_add_f64_e64 v[16:17], v[12:13], -v[16:17]
	;; [unrolled: 1-line block ×3, first 2 shown]
	s_delay_alu instid0(VALU_DEP_3) | instskip(NEXT) | instid1(VALU_DEP_3)
	v_fma_f64 v[77:78], v[10:11], 2.0, -v[14:15]
	v_fma_f64 v[79:80], v[12:13], 2.0, -v[16:17]
	v_add_f64_e64 v[10:11], v[14:15], -v[20:21]
	v_add_f64_e32 v[12:13], v[16:17], v[18:19]
	s_delay_alu instid0(VALU_DEP_2) | instskip(NEXT) | instid1(VALU_DEP_2)
	v_fma_f64 v[14:15], v[14:15], 2.0, -v[10:11]
	v_fma_f64 v[16:17], v[16:17], 2.0, -v[12:13]
	ds_store_b128 v48, v[10:13] offset:48000
	ds_load_b128 v[10:13], v48 offset:3200
	s_wait_dscnt 0x0
	v_add_f64_e64 v[22:23], v[10:11], -v[22:23]
	v_add_f64_e64 v[24:25], v[12:13], -v[24:25]
	s_delay_alu instid0(VALU_DEP_2) | instskip(NEXT) | instid1(VALU_DEP_2)
	v_fma_f64 v[81:82], v[10:11], 2.0, -v[22:23]
	v_fma_f64 v[86:87], v[12:13], 2.0, -v[24:25]
	v_add_f64_e64 v[10:11], v[22:23], -v[28:29]
	v_add_f64_e32 v[12:13], v[24:25], v[26:27]
	s_delay_alu instid0(VALU_DEP_4) | instskip(NEXT) | instid1(VALU_DEP_4)
	v_add_f64_e64 v[4:5], v[81:82], -v[4:5]
	v_add_f64_e64 v[6:7], v[86:87], -v[6:7]
	s_delay_alu instid0(VALU_DEP_4) | instskip(NEXT) | instid1(VALU_DEP_4)
	v_fma_f64 v[55:56], v[22:23], 2.0, -v[10:11]
	v_fma_f64 v[57:58], v[24:25], 2.0, -v[12:13]
	ds_store_b128 v48, v[10:13] offset:51200
	ds_load_b128 v[10:13], v48 offset:6400
	s_wait_dscnt 0x0
	v_add_f64_e64 v[22:23], v[10:11], -v[34:35]
	v_add_f64_e64 v[24:25], v[12:13], -v[36:37]
	s_delay_alu instid0(VALU_DEP_2) | instskip(NEXT) | instid1(VALU_DEP_2)
	v_fma_f64 v[34:35], v[10:11], 2.0, -v[22:23]
	v_fma_f64 v[36:37], v[12:13], 2.0, -v[24:25]
	v_add_f64_e64 v[10:11], v[22:23], -v[40:41]
	v_add_f64_e32 v[12:13], v[24:25], v[38:39]
	s_delay_alu instid0(VALU_DEP_2) | instskip(NEXT) | instid1(VALU_DEP_2)
	v_fma_f64 v[59:60], v[22:23], 2.0, -v[10:11]
	v_fma_f64 v[61:62], v[24:25], 2.0, -v[12:13]
	ds_store_b128 v48, v[10:13] offset:54400
	ds_load_b128 v[10:13], v48 offset:9600
	s_wait_dscnt 0x0
	v_add_f64_e64 v[22:23], v[10:11], -v[46:47]
	v_add_f64_e64 v[24:25], v[12:13], -v[49:50]
	s_delay_alu instid0(VALU_DEP_2) | instskip(NEXT) | instid1(VALU_DEP_2)
	v_fma_f64 v[46:47], v[10:11], 2.0, -v[22:23]
	v_fma_f64 v[49:50], v[12:13], 2.0, -v[24:25]
	v_add_f64_e64 v[10:11], v[22:23], -v[53:54]
	v_add_f64_e32 v[12:13], v[24:25], v[51:52]
	s_delay_alu instid0(VALU_DEP_2) | instskip(NEXT) | instid1(VALU_DEP_2)
	v_fma_f64 v[63:64], v[22:23], 2.0, -v[10:11]
	v_fma_f64 v[65:66], v[24:25], 2.0, -v[12:13]
	ds_store_b128 v48, v[10:13] offset:57600
	ds_load_b128 v[10:13], v48 offset:12800
	s_wait_dscnt 0x0
	v_add_f64_e64 v[22:23], v[10:11], -v[67:68]
	v_add_f64_e64 v[24:25], v[12:13], -v[69:70]
	s_delay_alu instid0(VALU_DEP_2) | instskip(NEXT) | instid1(VALU_DEP_2)
	v_fma_f64 v[100:101], v[10:11], 2.0, -v[22:23]
	v_fma_f64 v[106:107], v[12:13], 2.0, -v[24:25]
	v_add_f64_e64 v[10:11], v[22:23], -v[75:76]
	v_add_f64_e32 v[12:13], v[24:25], v[0:1]
	ds_store_b128 v48, v[10:13] offset:60800
	ds_store_b128 v48, v[14:17] offset:16000
	;; [unrolled: 1-line block ×3, first 2 shown]
	v_fma_f64 v[67:68], v[22:23], 2.0, -v[10:11]
	v_fma_f64 v[69:70], v[24:25], 2.0, -v[12:13]
	;; [unrolled: 1-line block ×4, first 2 shown]
	ds_store_b128 v48, v[4:7] offset:35200
	v_fma_f64 v[4:5], v[30:31], 2.0, -v[38:39]
	v_fma_f64 v[6:7], v[32:33], 2.0, -v[40:41]
	;; [unrolled: 1-line block ×3, first 2 shown]
	s_delay_alu instid0(VALU_DEP_3) | instskip(NEXT) | instid1(VALU_DEP_3)
	v_add_f64_e64 v[4:5], v[34:35], -v[4:5]
	v_add_f64_e64 v[6:7], v[36:37], -v[6:7]
	ds_store_b128 v48, v[4:7] offset:38400
	ds_store_b128 v48, v[59:62] offset:22400
	;; [unrolled: 1-line block ×3, first 2 shown]
	v_fma_f64 v[14:15], v[34:35], 2.0, -v[4:5]
	v_fma_f64 v[16:17], v[36:37], 2.0, -v[6:7]
	;; [unrolled: 1-line block ×4, first 2 shown]
	s_delay_alu instid0(VALU_DEP_2) | instskip(NEXT) | instid1(VALU_DEP_2)
	v_add_f64_e64 v[2:3], v[77:78], -v[4:5]
	v_add_f64_e64 v[4:5], v[79:80], -v[6:7]
	ds_store_b128 v48, v[2:5] offset:32000
	ds_store_b128 v48, v[67:70] offset:28800
	v_fma_f64 v[6:7], v[77:78], 2.0, -v[2:3]
	v_fma_f64 v[8:9], v[79:80], 2.0, -v[4:5]
	;; [unrolled: 1-line block ×4, first 2 shown]
	s_delay_alu instid0(VALU_DEP_2) | instskip(NEXT) | instid1(VALU_DEP_2)
	v_add_f64_e64 v[2:3], v[46:47], -v[2:3]
	v_add_f64_e64 v[4:5], v[49:50], -v[4:5]
	s_delay_alu instid0(VALU_DEP_2) | instskip(NEXT) | instid1(VALU_DEP_2)
	v_fma_f64 v[55:56], v[46:47], 2.0, -v[2:3]
	v_fma_f64 v[57:58], v[49:50], 2.0, -v[4:5]
	ds_store_b128 v48, v[2:5] offset:41600
	v_fma_f64 v[4:5], v[73:74], 2.0, -v[75:76]
	v_add_f64_e64 v[2:3], v[100:101], -v[0:1]
	s_delay_alu instid0(VALU_DEP_2) | instskip(NEXT) | instid1(VALU_DEP_2)
	v_add_f64_e64 v[4:5], v[106:107], -v[4:5]
	v_fma_f64 v[59:60], v[100:101], 2.0, -v[2:3]
	s_delay_alu instid0(VALU_DEP_2)
	v_fma_f64 v[61:62], v[106:107], 2.0, -v[4:5]
	ds_store_b128 v48, v[2:5] offset:44800
	ds_store_b128 v48, v[10:13] offset:3200
	;; [unrolled: 1-line block ×5, first 2 shown]
	ds_store_b128 v48, v[6:9]
	global_wb scope:SCOPE_SE
	s_wait_storecnt_dscnt 0x0
	s_barrier_signal -1
	s_barrier_wait -1
	global_inv scope:SCOPE_SE
	global_load_b128 v[4:7], v48, s[8:9] offset:64000
	ds_load_b128 v[8:11], v48
	ds_load_b128 v[55:58], v48 offset:12800
	s_add_nc_u64 s[8:9], s[8:9], 0xfa00
	ds_load_b128 v[59:62], v48 offset:19200
	ds_load_b128 v[65:68], v48 offset:25600
	;; [unrolled: 1-line block ×3, first 2 shown]
	global_load_b128 v[18:21], v48, s[8:9] offset:38400
	ds_load_b128 v[112:115], v48 offset:41600
	ds_load_b128 v[116:119], v48 offset:48000
	s_wait_loadcnt_dscnt 0x106
	v_mul_f64_e32 v[0:1], v[10:11], v[6:7]
	v_mul_f64_e32 v[2:3], v[8:9], v[6:7]
	s_delay_alu instid0(VALU_DEP_2)
	v_fma_f64 v[77:78], v[8:9], v[4:5], -v[0:1]
	global_load_b128 v[6:9], v48, s[8:9] offset:6400
	v_fma_f64 v[79:80], v[10:11], v[4:5], v[2:3]
	ds_load_b128 v[10:13], v48 offset:6400
	s_wait_loadcnt_dscnt 0x0
	v_mul_f64_e32 v[2:3], v[10:11], v[8:9]
	v_mul_f64_e32 v[0:1], v[12:13], v[8:9]
	s_delay_alu instid0(VALU_DEP_2)
	v_fma_f64 v[51:52], v[12:13], v[6:7], v[2:3]
	global_load_b128 v[12:15], v48, s[8:9] offset:12800
	v_fma_f64 v[49:50], v[10:11], v[6:7], -v[0:1]
	s_wait_loadcnt 0x0
	v_mul_f64_e32 v[0:1], v[57:58], v[14:15]
	v_mul_f64_e32 v[2:3], v[55:56], v[14:15]
	s_delay_alu instid0(VALU_DEP_2) | instskip(NEXT) | instid1(VALU_DEP_2)
	v_fma_f64 v[44:45], v[55:56], v[12:13], -v[0:1]
	v_fma_f64 v[46:47], v[57:58], v[12:13], v[2:3]
	global_load_b128 v[55:58], v48, s[8:9] offset:19200
	s_wait_loadcnt 0x0
	v_mul_f64_e32 v[0:1], v[61:62], v[57:58]
	v_mul_f64_e32 v[2:3], v[59:60], v[57:58]
	s_delay_alu instid0(VALU_DEP_2) | instskip(NEXT) | instid1(VALU_DEP_2)
	v_fma_f64 v[57:58], v[59:60], v[55:56], -v[0:1]
	v_fma_f64 v[59:60], v[61:62], v[55:56], v[2:3]
	global_load_b128 v[61:64], v48, s[8:9] offset:25600
	ds_load_b128 v[53:56], v48 offset:54400
	s_wait_loadcnt 0x0
	v_mul_f64_e32 v[0:1], v[67:68], v[63:64]
	v_mul_f64_e32 v[2:3], v[65:66], v[63:64]
	s_delay_alu instid0(VALU_DEP_2) | instskip(NEXT) | instid1(VALU_DEP_2)
	v_fma_f64 v[63:64], v[65:66], v[61:62], -v[0:1]
	v_fma_f64 v[65:66], v[67:68], v[61:62], v[2:3]
	global_load_b128 v[67:70], v48, s[8:9] offset:32000
	s_wait_loadcnt 0x0
	v_mul_f64_e32 v[0:1], v[73:74], v[69:70]
	v_mul_f64_e32 v[2:3], v[71:72], v[69:70]
	s_delay_alu instid0(VALU_DEP_2) | instskip(NEXT) | instid1(VALU_DEP_2)
	v_fma_f64 v[69:70], v[71:72], v[67:68], -v[0:1]
	v_fma_f64 v[71:72], v[73:74], v[67:68], v[2:3]
	ds_load_b128 v[73:76], v48 offset:38400
	s_wait_dscnt 0x0
	v_mul_f64_e32 v[0:1], v[75:76], v[20:21]
	v_mul_f64_e32 v[2:3], v[73:74], v[20:21]
	s_delay_alu instid0(VALU_DEP_2) | instskip(NEXT) | instid1(VALU_DEP_2)
	v_fma_f64 v[73:74], v[73:74], v[18:19], -v[0:1]
	v_fma_f64 v[75:76], v[75:76], v[18:19], v[2:3]
	global_load_b128 v[18:21], v48, s[8:9] offset:44800
	ds_load_b128 v[0:3], v48 offset:44800
	s_wait_loadcnt_dscnt 0x0
	v_mul_f64_e32 v[4:5], v[2:3], v[20:21]
	v_mul_f64_e32 v[6:7], v[0:1], v[20:21]
	s_delay_alu instid0(VALU_DEP_2) | instskip(NEXT) | instid1(VALU_DEP_2)
	v_fma_f64 v[40:41], v[0:1], v[18:19], -v[4:5]
	v_fma_f64 v[42:43], v[2:3], v[18:19], v[6:7]
	global_load_b128 v[4:7], v48, s[8:9] offset:51200
	ds_load_b128 v[18:21], v48 offset:51200
	s_wait_loadcnt_dscnt 0x0
	v_mul_f64_e32 v[0:1], v[20:21], v[6:7]
	v_mul_f64_e32 v[2:3], v[18:19], v[6:7]
	s_delay_alu instid0(VALU_DEP_2) | instskip(NEXT) | instid1(VALU_DEP_2)
	v_fma_f64 v[36:37], v[18:19], v[4:5], -v[0:1]
	v_fma_f64 v[38:39], v[20:21], v[4:5], v[2:3]
	global_load_b128 v[4:7], v48, s[8:9] offset:57600
	ds_load_b128 v[0:3], v48 offset:57600
	s_wait_loadcnt_dscnt 0x0
	v_mul_f64_e32 v[8:9], v[2:3], v[6:7]
	v_mul_f64_e32 v[6:7], v[0:1], v[6:7]
	s_delay_alu instid0(VALU_DEP_2) | instskip(NEXT) | instid1(VALU_DEP_2)
	v_fma_f64 v[32:33], v[0:1], v[4:5], -v[8:9]
	v_fma_f64 v[34:35], v[2:3], v[4:5], v[6:7]
	global_load_b128 v[4:7], v48, s[8:9] offset:3200
	ds_load_b128 v[0:3], v48 offset:3200
	s_wait_loadcnt_dscnt 0x0
	v_mul_f64_e32 v[8:9], v[2:3], v[6:7]
	v_mul_f64_e32 v[6:7], v[0:1], v[6:7]
	s_delay_alu instid0(VALU_DEP_2) | instskip(NEXT) | instid1(VALU_DEP_2)
	v_fma_f64 v[28:29], v[0:1], v[4:5], -v[8:9]
	v_fma_f64 v[30:31], v[2:3], v[4:5], v[6:7]
	global_load_b128 v[4:7], v48, s[8:9] offset:9600
	ds_load_b128 v[0:3], v48 offset:9600
	s_wait_loadcnt_dscnt 0x0
	v_mul_f64_e32 v[8:9], v[2:3], v[6:7]
	v_mul_f64_e32 v[6:7], v[0:1], v[6:7]
	s_delay_alu instid0(VALU_DEP_2) | instskip(NEXT) | instid1(VALU_DEP_2)
	v_fma_f64 v[24:25], v[0:1], v[4:5], -v[8:9]
	v_fma_f64 v[26:27], v[2:3], v[4:5], v[6:7]
	global_load_b128 v[4:7], v48, s[8:9] offset:16000
	ds_load_b128 v[0:3], v48 offset:16000
	s_wait_loadcnt_dscnt 0x0
	v_mul_f64_e32 v[8:9], v[2:3], v[6:7]
	v_mul_f64_e32 v[6:7], v[0:1], v[6:7]
	s_delay_alu instid0(VALU_DEP_2) | instskip(NEXT) | instid1(VALU_DEP_2)
	v_fma_f64 v[20:21], v[0:1], v[4:5], -v[8:9]
	v_fma_f64 v[22:23], v[2:3], v[4:5], v[6:7]
	global_load_b128 v[4:7], v48, s[8:9] offset:22400
	ds_load_b128 v[0:3], v48 offset:22400
	s_wait_loadcnt_dscnt 0x0
	v_mul_f64_e32 v[8:9], v[2:3], v[6:7]
	v_mul_f64_e32 v[6:7], v[0:1], v[6:7]
	s_delay_alu instid0(VALU_DEP_2) | instskip(NEXT) | instid1(VALU_DEP_2)
	v_fma_f64 v[16:17], v[0:1], v[4:5], -v[8:9]
	v_fma_f64 v[18:19], v[2:3], v[4:5], v[6:7]
	global_load_b128 v[4:7], v48, s[8:9] offset:28800
	ds_load_b128 v[0:3], v48 offset:28800
	s_wait_loadcnt_dscnt 0x0
	v_mul_f64_e32 v[8:9], v[2:3], v[6:7]
	v_mul_f64_e32 v[6:7], v[0:1], v[6:7]
	s_delay_alu instid0(VALU_DEP_2) | instskip(NEXT) | instid1(VALU_DEP_2)
	v_fma_f64 v[12:13], v[0:1], v[4:5], -v[8:9]
	v_fma_f64 v[14:15], v[2:3], v[4:5], v[6:7]
	global_load_b128 v[4:7], v48, s[8:9] offset:35200
	ds_load_b128 v[0:3], v48 offset:35200
	s_wait_loadcnt_dscnt 0x0
	v_mul_f64_e32 v[8:9], v[2:3], v[6:7]
	v_mul_f64_e32 v[6:7], v[0:1], v[6:7]
	s_delay_alu instid0(VALU_DEP_2) | instskip(NEXT) | instid1(VALU_DEP_2)
	v_fma_f64 v[8:9], v[0:1], v[4:5], -v[8:9]
	v_fma_f64 v[10:11], v[2:3], v[4:5], v[6:7]
	global_load_b128 v[4:7], v48, s[8:9] offset:41600
	s_wait_loadcnt 0x0
	v_mul_f64_e32 v[0:1], v[114:115], v[6:7]
	v_mul_f64_e32 v[2:3], v[112:113], v[6:7]
	s_delay_alu instid0(VALU_DEP_2) | instskip(NEXT) | instid1(VALU_DEP_2)
	v_fma_f64 v[112:113], v[112:113], v[4:5], -v[0:1]
	v_fma_f64 v[114:115], v[114:115], v[4:5], v[2:3]
	global_load_b128 v[4:7], v48, s[8:9] offset:48000
	s_wait_loadcnt 0x0
	;; [unrolled: 7-line block ×3, first 2 shown]
	v_mul_f64_e32 v[0:1], v[55:56], v[6:7]
	v_mul_f64_e32 v[2:3], v[53:54], v[6:7]
	s_delay_alu instid0(VALU_DEP_2) | instskip(NEXT) | instid1(VALU_DEP_2)
	v_fma_f64 v[53:54], v[53:54], v[4:5], -v[0:1]
	v_fma_f64 v[55:56], v[55:56], v[4:5], v[2:3]
	global_load_b128 v[4:7], v48, s[8:9] offset:60800
	ds_load_b128 v[0:3], v48 offset:60800
	s_wait_loadcnt_dscnt 0x0
	v_mul_f64_e32 v[61:62], v[2:3], v[6:7]
	v_mul_f64_e32 v[6:7], v[0:1], v[6:7]
	s_delay_alu instid0(VALU_DEP_2) | instskip(NEXT) | instid1(VALU_DEP_2)
	v_fma_f64 v[0:1], v[0:1], v[4:5], -v[61:62]
	v_fma_f64 v[2:3], v[2:3], v[4:5], v[6:7]
	ds_store_b128 v48, v[49:52] offset:6400
	ds_store_b128 v48, v[28:31] offset:3200
	;; [unrolled: 1-line block ×18, first 2 shown]
	ds_store_b128 v48, v[77:80]
	ds_store_b128 v48, v[0:3] offset:60800
	global_wb scope:SCOPE_SE
	s_wait_dscnt 0x0
	s_barrier_signal -1
	s_barrier_wait -1
	global_inv scope:SCOPE_SE
	ds_load_b128 v[0:3], v48
	ds_load_b128 v[4:7], v48 offset:12800
	ds_load_b128 v[8:11], v48 offset:25600
	s_wait_dscnt 0x1
	v_add_f64_e32 v[12:13], v[0:1], v[4:5]
	s_wait_dscnt 0x0
	v_add_f64_e64 v[22:23], v[4:5], -v[8:9]
	v_add_f64_e64 v[24:25], v[8:9], -v[4:5]
	;; [unrolled: 1-line block ×4, first 2 shown]
	v_add_f64_e32 v[16:17], v[12:13], v[8:9]
	v_add_f64_e32 v[12:13], v[2:3], v[6:7]
	s_delay_alu instid0(VALU_DEP_1)
	v_add_f64_e32 v[18:19], v[12:13], v[10:11]
	ds_load_b128 v[12:15], v48 offset:38400
	s_wait_dscnt 0x0
	v_add_f64_e32 v[20:21], v[8:9], v[12:13]
	v_add_f64_e64 v[32:33], v[10:11], -v[14:15]
	v_add_f64_e32 v[26:27], v[10:11], v[14:15]
	v_add_f64_e64 v[34:35], v[8:9], -v[12:13]
	ds_load_b128 v[8:11], v48 offset:51200
	s_wait_dscnt 0x0
	v_add_f64_e64 v[36:37], v[6:7], -v[10:11]
	v_add_f64_e32 v[38:39], v[4:5], v[8:9]
	v_add_f64_e64 v[40:41], v[4:5], -v[8:9]
	v_add_f64_e32 v[42:43], v[6:7], v[10:11]
	v_add_f64_e32 v[4:5], v[16:17], v[12:13]
	;; [unrolled: 1-line block ×3, first 2 shown]
	v_add_f64_e64 v[44:45], v[8:9], -v[12:13]
	v_add_f64_e64 v[46:47], v[12:13], -v[8:9]
	;; [unrolled: 1-line block ×4, first 2 shown]
	v_fma_f64 v[100:101], v[26:27], -0.5, v[2:3]
	v_fma_f64 v[38:39], v[38:39], -0.5, v[0:1]
	v_fma_f64 v[26:27], v[42:43], -0.5, v[2:3]
	v_add_f64_e32 v[53:54], v[4:5], v[8:9]
	v_add_f64_e32 v[55:56], v[6:7], v[10:11]
	ds_load_b128 v[4:7], v48 offset:19200
	ds_load_b128 v[8:11], v48 offset:6400
	;; [unrolled: 1-line block ×3, first 2 shown]
	v_add_f64_e32 v[49:50], v[28:29], v[49:50]
	v_add_f64_e32 v[28:29], v[30:31], v[51:52]
	;; [unrolled: 1-line block ×4, first 2 shown]
	s_wait_dscnt 0x1
	v_add_f64_e32 v[16:17], v[8:9], v[4:5]
	s_wait_dscnt 0x0
	v_add_f64_e64 v[65:66], v[4:5], -v[12:13]
	v_add_f64_e64 v[67:68], v[12:13], -v[4:5]
	;; [unrolled: 1-line block ×4, first 2 shown]
	v_add_f64_e32 v[57:58], v[16:17], v[12:13]
	v_add_f64_e32 v[16:17], v[10:11], v[6:7]
	s_delay_alu instid0(VALU_DEP_1)
	v_add_f64_e32 v[59:60], v[16:17], v[14:15]
	ds_load_b128 v[16:19], v48 offset:44800
	s_wait_dscnt 0x0
	v_add_f64_e32 v[69:70], v[14:15], v[18:19]
	v_add_f64_e32 v[61:62], v[12:13], v[16:17]
	v_add_f64_e64 v[63:64], v[14:15], -v[18:19]
	v_add_f64_e64 v[71:72], v[12:13], -v[16:17]
	ds_load_b128 v[12:15], v48 offset:57600
	s_wait_dscnt 0x0
	v_add_f64_e64 v[77:78], v[6:7], -v[14:15]
	v_add_f64_e32 v[79:80], v[4:5], v[12:13]
	v_add_f64_e64 v[81:82], v[4:5], -v[12:13]
	v_add_f64_e32 v[4:5], v[6:7], v[14:15]
	v_add_f64_e32 v[6:7], v[57:58], v[16:17]
	;; [unrolled: 1-line block ×3, first 2 shown]
	v_add_f64_e64 v[59:60], v[12:13], -v[16:17]
	v_add_f64_e64 v[16:17], v[16:17], -v[12:13]
	;; [unrolled: 1-line block ×4, first 2 shown]
	v_fma_f64 v[42:43], v[69:70], -0.5, v[10:11]
	v_fma_f64 v[61:62], v[61:62], -0.5, v[8:9]
	;; [unrolled: 1-line block ×4, first 2 shown]
	v_add_f64_e32 v[6:7], v[6:7], v[12:13]
	v_add_f64_e32 v[12:13], v[57:58], v[14:15]
	v_fma_f64 v[57:58], v[20:21], -0.5, v[0:1]
	v_add_f64_e32 v[30:31], v[67:68], v[16:17]
	v_add_f64_e32 v[46:47], v[75:76], v[18:19]
	v_fma_f64 v[8:9], v[81:82], s[16:17], v[42:43]
	v_fma_f64 v[10:11], v[77:78], s[18:19], v[61:62]
	;; [unrolled: 1-line block ×4, first 2 shown]
	v_add_f64_e32 v[0:1], v[53:54], v[6:7]
	v_add_f64_e32 v[2:3], v[55:56], v[12:13]
	v_add_f64_e64 v[4:5], v[53:54], -v[6:7]
	v_add_f64_e64 v[6:7], v[55:56], -v[12:13]
	v_add_f64_e32 v[55:56], v[73:74], v[86:87]
	v_add_f64_e32 v[53:54], v[65:66], v[59:60]
	v_fma_f64 v[8:9], v[71:72], s[2:3], v[8:9]
	v_fma_f64 v[10:11], v[63:64], s[12:13], v[10:11]
	;; [unrolled: 1-line block ×4, first 2 shown]
	s_delay_alu instid0(VALU_DEP_4) | instskip(NEXT) | instid1(VALU_DEP_4)
	v_fma_f64 v[8:9], v[55:56], s[14:15], v[8:9]
	v_fma_f64 v[10:11], v[53:54], s[14:15], v[10:11]
	s_delay_alu instid0(VALU_DEP_4) | instskip(NEXT) | instid1(VALU_DEP_4)
	v_fma_f64 v[18:19], v[30:31], s[14:15], v[18:19]
	v_fma_f64 v[16:17], v[46:47], s[14:15], v[16:17]
	s_delay_alu instid0(VALU_DEP_4) | instskip(NEXT) | instid1(VALU_DEP_1)
	v_mul_f64_e32 v[12:13], s[12:13], v[8:9]
	v_fma_f64 v[12:13], v[10:11], s[24:25], v[12:13]
	v_mul_f64_e32 v[10:11], s[2:3], v[10:11]
	s_delay_alu instid0(VALU_DEP_1) | instskip(SKIP_2) | instid1(VALU_DEP_2)
	v_fma_f64 v[14:15], v[8:9], s[24:25], v[10:11]
	v_fma_f64 v[8:9], v[36:37], s[18:19], v[57:58]
	;; [unrolled: 1-line block ×4, first 2 shown]
	s_delay_alu instid0(VALU_DEP_2) | instskip(NEXT) | instid1(VALU_DEP_2)
	v_fma_f64 v[10:11], v[34:35], s[2:3], v[10:11]
	v_fma_f64 v[20:21], v[44:45], s[14:15], v[8:9]
	s_delay_alu instid0(VALU_DEP_2) | instskip(NEXT) | instid1(VALU_DEP_2)
	v_fma_f64 v[22:23], v[49:50], s[14:15], v[10:11]
	v_add_f64_e32 v[8:9], v[20:21], v[12:13]
	v_add_f64_e64 v[12:13], v[20:21], -v[12:13]
	v_mul_f64_e32 v[20:21], s[18:19], v[16:17]
	v_mul_f64_e32 v[16:17], s[14:15], v[16:17]
	v_add_f64_e32 v[10:11], v[22:23], v[14:15]
	v_add_f64_e64 v[14:15], v[22:23], -v[14:15]
	s_delay_alu instid0(VALU_DEP_4) | instskip(NEXT) | instid1(VALU_DEP_4)
	v_fma_f64 v[20:21], v[18:19], s[14:15], v[20:21]
	v_fma_f64 v[22:23], v[18:19], s[16:17], v[16:17]
	;; [unrolled: 1-line block ×5, first 2 shown]
	s_delay_alu instid0(VALU_DEP_3) | instskip(NEXT) | instid1(VALU_DEP_3)
	v_fma_f64 v[16:17], v[36:37], s[12:13], v[16:17]
	v_fma_f64 v[38:39], v[36:37], s[2:3], v[38:39]
	s_delay_alu instid0(VALU_DEP_3) | instskip(SKIP_1) | instid1(VALU_DEP_4)
	v_fma_f64 v[18:19], v[40:41], s[2:3], v[18:19]
	v_fma_f64 v[36:37], v[36:37], s[16:17], v[57:58]
	;; [unrolled: 1-line block ×3, first 2 shown]
	s_delay_alu instid0(VALU_DEP_4)
	v_fma_f64 v[38:39], v[24:25], s[14:15], v[38:39]
	v_fma_f64 v[24:25], v[34:35], s[16:17], v[26:27]
	;; [unrolled: 1-line block ×5, first 2 shown]
	v_add_f64_e32 v[16:17], v[51:52], v[20:21]
	v_add_f64_e64 v[20:21], v[51:52], -v[20:21]
	v_fma_f64 v[24:25], v[40:41], s[12:13], v[24:25]
	v_fma_f64 v[26:27], v[77:78], s[2:3], v[26:27]
	;; [unrolled: 1-line block ×3, first 2 shown]
	v_add_f64_e32 v[18:19], v[59:60], v[22:23]
	v_add_f64_e64 v[22:23], v[59:60], -v[22:23]
	v_fma_f64 v[51:52], v[28:29], s[14:15], v[24:25]
	v_fma_f64 v[24:25], v[71:72], s[16:17], v[79:80]
	;; [unrolled: 1-line block ×5, first 2 shown]
	s_delay_alu instid0(VALU_DEP_4) | instskip(NEXT) | instid1(VALU_DEP_1)
	v_fma_f64 v[24:25], v[81:82], s[12:13], v[24:25]
	v_fma_f64 v[24:25], v[46:47], s[14:15], v[24:25]
	s_delay_alu instid0(VALU_DEP_1) | instskip(SKIP_1) | instid1(VALU_DEP_2)
	v_mul_f64_e32 v[28:29], s[18:19], v[24:25]
	v_mul_f64_e32 v[24:25], s[20:21], v[24:25]
	v_fma_f64 v[28:29], v[26:27], s[20:21], v[28:29]
	s_delay_alu instid0(VALU_DEP_2) | instskip(NEXT) | instid1(VALU_DEP_2)
	v_fma_f64 v[30:31], v[26:27], s[16:17], v[24:25]
	v_add_f64_e32 v[24:25], v[38:39], v[28:29]
	v_add_f64_e64 v[28:29], v[38:39], -v[28:29]
	v_fma_f64 v[38:39], v[81:82], s[18:19], v[42:43]
	v_fma_f64 v[42:43], v[77:78], s[16:17], v[61:62]
	v_add_f64_e32 v[26:27], v[51:52], v[30:31]
	v_add_f64_e64 v[30:31], v[51:52], -v[30:31]
	s_delay_alu instid0(VALU_DEP_4) | instskip(NEXT) | instid1(VALU_DEP_4)
	v_fma_f64 v[38:39], v[71:72], s[12:13], v[38:39]
	v_fma_f64 v[36:37], v[63:64], s[2:3], v[42:43]
	;; [unrolled: 1-line block ×3, first 2 shown]
	s_delay_alu instid0(VALU_DEP_3) | instskip(NEXT) | instid1(VALU_DEP_3)
	v_fma_f64 v[38:39], v[55:56], s[14:15], v[38:39]
	v_fma_f64 v[32:33], v[53:54], s[14:15], v[36:37]
	s_delay_alu instid0(VALU_DEP_2) | instskip(SKIP_1) | instid1(VALU_DEP_2)
	v_mul_f64_e32 v[34:35], s[12:13], v[38:39]
	v_mul_f64_e32 v[36:37], s[22:23], v[38:39]
	v_fma_f64 v[38:39], v[32:33], s[22:23], v[34:35]
	s_delay_alu instid0(VALU_DEP_2) | instskip(NEXT) | instid1(VALU_DEP_2)
	v_fma_f64 v[44:45], v[32:33], s[2:3], v[36:37]
	v_add_f64_e32 v[32:33], v[40:41], v[38:39]
	s_delay_alu instid0(VALU_DEP_2)
	v_add_f64_e32 v[34:35], v[42:43], v[44:45]
	v_add_f64_e64 v[36:37], v[40:41], -v[38:39]
	v_add_f64_e64 v[38:39], v[42:43], -v[44:45]
	ds_load_b128 v[40:43], v48 offset:9600
	ds_load_b128 v[44:47], v48 offset:60800
	;; [unrolled: 1-line block ×10, first 2 shown]
	global_wb scope:SCOPE_SE
	s_wait_dscnt 0x0
	s_barrier_signal -1
	s_barrier_wait -1
	global_inv scope:SCOPE_SE
	ds_store_b128 v133, v[0:3]
	ds_store_b128 v133, v[4:7] offset:80
	ds_store_b128 v133, v[8:11] offset:16
	;; [unrolled: 1-line block ×9, first 2 shown]
	v_add_f64_e32 v[0:1], v[53:54], v[57:58]
	v_add_f64_e32 v[2:3], v[55:56], v[59:60]
	;; [unrolled: 1-line block ×3, first 2 shown]
	v_add_f64_e64 v[34:35], v[69:70], -v[73:74]
	v_add_f64_e64 v[20:21], v[77:78], -v[73:74]
	;; [unrolled: 1-line block ×6, first 2 shown]
	v_add_f64_e32 v[6:7], v[71:72], v[75:76]
	v_add_f64_e64 v[10:11], v[59:60], -v[71:72]
	v_add_f64_e64 v[18:19], v[71:72], -v[59:60]
	;; [unrolled: 1-line block ×3, first 2 shown]
	v_add_f64_e32 v[12:13], v[57:58], v[77:78]
	v_add_f64_e64 v[38:39], v[57:58], -v[77:78]
	v_add_f64_e32 v[14:15], v[59:60], v[79:80]
	v_add_f64_e64 v[24:25], v[79:80], -v[75:76]
	v_add_f64_e64 v[26:27], v[75:76], -v[79:80]
	v_add_f64_e32 v[57:58], v[61:62], v[65:66]
	v_add_f64_e64 v[81:82], v[44:45], -v[65:66]
	v_add_f64_e64 v[59:60], v[63:64], -v[67:68]
	;; [unrolled: 1-line block ×3, first 2 shown]
	v_add_f64_e32 v[0:1], v[0:1], v[69:70]
	v_add_f64_e32 v[2:3], v[2:3], v[71:72]
	v_add_f64_e64 v[69:70], v[49:50], -v[61:62]
	v_add_f64_e64 v[71:72], v[61:62], -v[49:50]
	v_fma_f64 v[100:101], v[4:5], -0.5, v[53:54]
	v_fma_f64 v[106:107], v[6:7], -0.5, v[55:56]
	;; [unrolled: 1-line block ×4, first 2 shown]
	v_add_f64_e32 v[26:27], v[18:19], v[26:27]
	v_fma_f64 v[57:58], v[57:58], -0.5, v[40:41]
	v_add_f64_e32 v[0:1], v[0:1], v[73:74]
	v_add_f64_e32 v[2:3], v[2:3], v[75:76]
	;; [unrolled: 1-line block ×3, first 2 shown]
	v_add_f64_e64 v[75:76], v[51:52], -v[63:64]
	s_delay_alu instid0(VALU_DEP_4)
	v_add_f64_e32 v[28:29], v[0:1], v[77:78]
	v_add_f64_e32 v[0:1], v[40:41], v[49:50]
	;; [unrolled: 1-line block ×5, first 2 shown]
	v_add_f64_e64 v[49:50], v[49:50], -v[44:45]
	v_fma_f64 v[73:74], v[73:74], -0.5, v[42:43]
	v_add_f64_e64 v[77:78], v[51:52], -v[46:47]
	v_add_f64_e32 v[0:1], v[0:1], v[61:62]
	v_add_f64_e64 v[61:62], v[61:62], -v[65:66]
	v_add_f64_e32 v[2:3], v[2:3], v[63:64]
	;; [unrolled: 2-line block ×3, first 2 shown]
	v_fma_f64 v[40:41], v[79:80], -0.5, v[40:41]
	v_add_f64_e32 v[0:1], v[0:1], v[65:66]
	v_add_f64_e64 v[65:66], v[65:66], -v[44:45]
	v_add_f64_e32 v[2:3], v[2:3], v[67:68]
	v_add_f64_e64 v[67:68], v[67:68], -v[46:47]
	v_fma_f64 v[42:43], v[51:52], -0.5, v[42:43]
	v_add_f64_e32 v[51:52], v[69:70], v[81:82]
	v_add_f64_e32 v[69:70], v[75:76], v[86:87]
	v_fma_f64 v[18:19], v[59:60], s[16:17], v[40:41]
	v_add_f64_e32 v[44:45], v[0:1], v[44:45]
	v_add_f64_e32 v[46:47], v[2:3], v[46:47]
	s_delay_alu instid0(VALU_DEP_3) | instskip(NEXT) | instid1(VALU_DEP_3)
	v_fma_f64 v[18:19], v[77:78], s[12:13], v[18:19]
	v_add_f64_e32 v[0:1], v[28:29], v[44:45]
	v_add_f64_e64 v[4:5], v[28:29], -v[44:45]
	v_add_f64_e32 v[44:45], v[8:9], v[20:21]
	v_fma_f64 v[8:9], v[49:50], s[16:17], v[73:74]
	v_add_f64_e32 v[2:3], v[30:31], v[46:47]
	v_add_f64_e64 v[6:7], v[30:31], -v[46:47]
	v_add_f64_e32 v[46:47], v[10:11], v[24:25]
	v_fma_f64 v[10:11], v[77:78], s[18:19], v[57:58]
	v_add_f64_e32 v[30:31], v[63:64], v[67:68]
	v_add_f64_e32 v[28:29], v[71:72], v[65:66]
	v_fma_f64 v[8:9], v[61:62], s[2:3], v[8:9]
	s_delay_alu instid0(VALU_DEP_4) | instskip(NEXT) | instid1(VALU_DEP_3)
	v_fma_f64 v[10:11], v[59:60], s[12:13], v[10:11]
	v_fma_f64 v[18:19], v[28:29], s[14:15], v[18:19]
	s_delay_alu instid0(VALU_DEP_3) | instskip(NEXT) | instid1(VALU_DEP_3)
	v_fma_f64 v[8:9], v[69:70], s[14:15], v[8:9]
	v_fma_f64 v[10:11], v[51:52], s[14:15], v[10:11]
	s_delay_alu instid0(VALU_DEP_2) | instskip(NEXT) | instid1(VALU_DEP_1)
	v_mul_f64_e32 v[12:13], s[12:13], v[8:9]
	v_fma_f64 v[12:13], v[10:11], s[24:25], v[12:13]
	v_mul_f64_e32 v[10:11], s[2:3], v[10:11]
	s_delay_alu instid0(VALU_DEP_1) | instskip(SKIP_2) | instid1(VALU_DEP_2)
	v_fma_f64 v[14:15], v[8:9], s[24:25], v[10:11]
	v_fma_f64 v[10:11], v[38:39], s[16:17], v[106:107]
	;; [unrolled: 1-line block ×4, first 2 shown]
	s_delay_alu instid0(VALU_DEP_2) | instskip(NEXT) | instid1(VALU_DEP_2)
	v_fma_f64 v[8:9], v[32:33], s[12:13], v[8:9]
	v_fma_f64 v[24:25], v[46:47], s[14:15], v[10:11]
	s_delay_alu instid0(VALU_DEP_2) | instskip(NEXT) | instid1(VALU_DEP_2)
	v_fma_f64 v[20:21], v[44:45], s[14:15], v[8:9]
	v_add_f64_e32 v[10:11], v[24:25], v[14:15]
	v_add_f64_e64 v[14:15], v[24:25], -v[14:15]
	v_add_f64_e32 v[24:25], v[16:17], v[22:23]
	v_fma_f64 v[16:17], v[61:62], s[18:19], v[42:43]
	v_add_f64_e32 v[8:9], v[20:21], v[12:13]
	v_add_f64_e64 v[12:13], v[20:21], -v[12:13]
	s_delay_alu instid0(VALU_DEP_3) | instskip(NEXT) | instid1(VALU_DEP_1)
	v_fma_f64 v[16:17], v[49:50], s[2:3], v[16:17]
	v_fma_f64 v[16:17], v[30:31], s[14:15], v[16:17]
	s_delay_alu instid0(VALU_DEP_1) | instskip(SKIP_1) | instid1(VALU_DEP_2)
	v_mul_f64_e32 v[20:21], s[18:19], v[16:17]
	v_mul_f64_e32 v[16:17], s[14:15], v[16:17]
	v_fma_f64 v[20:21], v[18:19], s[14:15], v[20:21]
	s_delay_alu instid0(VALU_DEP_2) | instskip(SKIP_3) | instid1(VALU_DEP_3)
	v_fma_f64 v[22:23], v[18:19], s[16:17], v[16:17]
	v_fma_f64 v[16:17], v[32:33], s[16:17], v[53:54]
	;; [unrolled: 1-line block ×5, first 2 shown]
	s_delay_alu instid0(VALU_DEP_3) | instskip(NEXT) | instid1(VALU_DEP_3)
	v_fma_f64 v[53:54], v[36:37], s[2:3], v[53:54]
	v_fma_f64 v[18:19], v[38:39], s[2:3], v[18:19]
	;; [unrolled: 1-line block ×3, first 2 shown]
	s_delay_alu instid0(VALU_DEP_4) | instskip(NEXT) | instid1(VALU_DEP_4)
	v_fma_f64 v[63:64], v[24:25], s[14:15], v[16:17]
	v_fma_f64 v[53:54], v[24:25], s[14:15], v[53:54]
	;; [unrolled: 1-line block ×5, first 2 shown]
	v_add_f64_e32 v[16:17], v[63:64], v[20:21]
	v_add_f64_e64 v[20:21], v[63:64], -v[20:21]
	v_fma_f64 v[24:25], v[38:39], s[12:13], v[24:25]
	v_fma_f64 v[38:39], v[38:39], s[18:19], v[106:107]
	v_add_f64_e32 v[18:19], v[65:66], v[22:23]
	v_add_f64_e64 v[22:23], v[65:66], -v[22:23]
	s_delay_alu instid0(VALU_DEP_4)
	v_fma_f64 v[55:56], v[26:27], s[14:15], v[24:25]
	v_fma_f64 v[24:25], v[61:62], s[16:17], v[42:43]
	;; [unrolled: 1-line block ×16, first 2 shown]
	v_mul_f64_e32 v[28:29], s[18:19], v[24:25]
	v_mul_f64_e32 v[24:25], s[20:21], v[24:25]
	;; [unrolled: 1-line block ×4, first 2 shown]
	s_delay_alu instid0(VALU_DEP_4) | instskip(NEXT) | instid1(VALU_DEP_4)
	v_fma_f64 v[28:29], v[26:27], s[20:21], v[28:29]
	v_fma_f64 v[30:31], v[26:27], s[16:17], v[24:25]
	s_delay_alu instid0(VALU_DEP_4) | instskip(NEXT) | instid1(VALU_DEP_4)
	v_fma_f64 v[38:39], v[32:33], s[22:23], v[34:35]
	v_fma_f64 v[44:45], v[32:33], s[2:3], v[36:37]
	s_delay_alu instid0(VALU_DEP_4) | instskip(NEXT) | instid1(VALU_DEP_4)
	v_add_f64_e32 v[24:25], v[53:54], v[28:29]
	v_add_f64_e32 v[26:27], v[55:56], v[30:31]
	s_delay_alu instid0(VALU_DEP_4) | instskip(NEXT) | instid1(VALU_DEP_4)
	v_add_f64_e32 v[32:33], v[40:41], v[38:39]
	v_add_f64_e32 v[34:35], v[42:43], v[44:45]
	v_add_f64_e64 v[28:29], v[53:54], -v[28:29]
	v_add_f64_e64 v[30:31], v[55:56], -v[30:31]
	;; [unrolled: 1-line block ×4, first 2 shown]
	ds_store_b128 v124, v[0:3]
	ds_store_b128 v124, v[8:11] offset:16
	ds_store_b128 v124, v[16:19] offset:32
	;; [unrolled: 1-line block ×9, first 2 shown]
	global_wb scope:SCOPE_SE
	s_wait_dscnt 0x0
	s_barrier_signal -1
	s_barrier_wait -1
	global_inv scope:SCOPE_SE
	scratch_load_b128 v[6:9], off, off offset:360 th:TH_LOAD_LU ; 16-byte Folded Reload
	ds_load_b128 v[0:3], v48 offset:6400
	ds_load_b128 v[10:13], v48 offset:16000
	s_wait_loadcnt_dscnt 0x1
	v_mul_f64_e32 v[4:5], v[8:9], v[2:3]
	s_delay_alu instid0(VALU_DEP_1) | instskip(SKIP_1) | instid1(VALU_DEP_1)
	v_fma_f64 v[26:27], v[6:7], v[0:1], v[4:5]
	v_mul_f64_e32 v[0:1], v[8:9], v[0:1]
	v_fma_f64 v[28:29], v[6:7], v[2:3], -v[0:1]
	scratch_load_b128 v[6:9], off, off offset:376 th:TH_LOAD_LU ; 16-byte Folded Reload
	ds_load_b128 v[0:3], v48 offset:12800
	s_wait_loadcnt_dscnt 0x0
	v_mul_f64_e32 v[4:5], v[8:9], v[2:3]
	s_delay_alu instid0(VALU_DEP_1) | instskip(SKIP_1) | instid1(VALU_DEP_1)
	v_fma_f64 v[30:31], v[6:7], v[0:1], v[4:5]
	v_mul_f64_e32 v[0:1], v[8:9], v[0:1]
	v_fma_f64 v[32:33], v[6:7], v[2:3], -v[0:1]
	scratch_load_b128 v[6:9], off, off offset:392 th:TH_LOAD_LU ; 16-byte Folded Reload
	;; [unrolled: 8-line block ×3, first 2 shown]
	ds_load_b128 v[0:3], v48 offset:25600
	v_add_f64_e32 v[16:17], v[28:29], v[36:37]
	s_wait_loadcnt_dscnt 0x0
	v_mul_f64_e32 v[4:5], v[8:9], v[2:3]
	s_delay_alu instid0(VALU_DEP_1) | instskip(SKIP_1) | instid1(VALU_DEP_1)
	v_fma_f64 v[38:39], v[6:7], v[0:1], v[4:5]
	v_mul_f64_e32 v[0:1], v[8:9], v[0:1]
	v_fma_f64 v[40:41], v[6:7], v[2:3], -v[0:1]
	scratch_load_b128 v[6:9], off, off offset:424 th:TH_LOAD_LU ; 16-byte Folded Reload
	ds_load_b128 v[0:3], v48 offset:32000
	s_wait_loadcnt_dscnt 0x0
	v_mul_f64_e32 v[4:5], v[8:9], v[2:3]
	s_delay_alu instid0(VALU_DEP_1) | instskip(SKIP_1) | instid1(VALU_DEP_1)
	v_fma_f64 v[42:43], v[6:7], v[0:1], v[4:5]
	v_mul_f64_e32 v[0:1], v[8:9], v[0:1]
	v_fma_f64 v[44:45], v[6:7], v[2:3], -v[0:1]
	scratch_load_b128 v[6:9], off, off offset:440 th:TH_LOAD_LU ; 16-byte Folded Reload
	ds_load_b128 v[0:3], v48 offset:38400
	v_add_f64_e32 v[16:17], v[16:17], v[44:45]
	s_wait_loadcnt_dscnt 0x0
	v_mul_f64_e32 v[4:5], v[8:9], v[2:3]
	s_delay_alu instid0(VALU_DEP_1) | instskip(SKIP_1) | instid1(VALU_DEP_1)
	v_fma_f64 v[46:47], v[6:7], v[0:1], v[4:5]
	v_mul_f64_e32 v[0:1], v[8:9], v[0:1]
	v_fma_f64 v[49:50], v[6:7], v[2:3], -v[0:1]
	scratch_load_b128 v[6:9], off, off offset:456 th:TH_LOAD_LU ; 16-byte Folded Reload
	ds_load_b128 v[0:3], v48 offset:44800
	s_wait_loadcnt_dscnt 0x0
	v_mul_f64_e32 v[4:5], v[8:9], v[2:3]
	s_delay_alu instid0(VALU_DEP_1) | instskip(SKIP_1) | instid1(VALU_DEP_1)
	v_fma_f64 v[51:52], v[6:7], v[0:1], v[4:5]
	v_mul_f64_e32 v[0:1], v[8:9], v[0:1]
	v_fma_f64 v[53:54], v[6:7], v[2:3], -v[0:1]
	scratch_load_b128 v[6:9], off, off offset:472 th:TH_LOAD_LU ; 16-byte Folded Reload
	ds_load_b128 v[0:3], v48 offset:51200
	v_add_f64_e32 v[16:17], v[16:17], v[53:54]
	s_wait_loadcnt_dscnt 0x0
	v_mul_f64_e32 v[4:5], v[8:9], v[2:3]
	s_delay_alu instid0(VALU_DEP_1) | instskip(SKIP_1) | instid1(VALU_DEP_2)
	v_fma_f64 v[55:56], v[6:7], v[0:1], v[4:5]
	v_mul_f64_e32 v[0:1], v[8:9], v[0:1]
	v_add_f64_e32 v[14:15], v[30:31], v[55:56]
	s_delay_alu instid0(VALU_DEP_2) | instskip(SKIP_4) | instid1(VALU_DEP_1)
	v_fma_f64 v[57:58], v[6:7], v[2:3], -v[0:1]
	scratch_load_b128 v[6:9], off, off offset:488 th:TH_LOAD_LU ; 16-byte Folded Reload
	ds_load_b128 v[0:3], v48 offset:57600
	s_wait_loadcnt_dscnt 0x0
	v_mul_f64_e32 v[4:5], v[8:9], v[2:3]
	v_fma_f64 v[59:60], v[6:7], v[0:1], v[4:5]
	v_mul_f64_e32 v[0:1], v[8:9], v[0:1]
	s_delay_alu instid0(VALU_DEP_1)
	v_fma_f64 v[61:62], v[6:7], v[2:3], -v[0:1]
	scratch_load_b128 v[6:9], off, off offset:504 th:TH_LOAD_LU ; 16-byte Folded Reload
	ds_load_b128 v[0:3], v48 offset:9600
	v_add_f64_e32 v[16:17], v[16:17], v[61:62]
	s_wait_loadcnt_dscnt 0x0
	v_mul_f64_e32 v[4:5], v[8:9], v[2:3]
	s_delay_alu instid0(VALU_DEP_1) | instskip(SKIP_1) | instid1(VALU_DEP_1)
	v_fma_f64 v[90:91], v[6:7], v[0:1], v[4:5]
	v_mul_f64_e32 v[0:1], v[8:9], v[0:1]
	v_fma_f64 v[84:85], v[6:7], v[2:3], -v[0:1]
	scratch_load_b128 v[2:5], off, off offset:520 th:TH_LOAD_LU ; 16-byte Folded Reload
	s_wait_loadcnt 0x0
	v_mul_f64_e32 v[0:1], v[4:5], v[12:13]
	s_delay_alu instid0(VALU_DEP_1) | instskip(SKIP_1) | instid1(VALU_DEP_1)
	v_fma_f64 v[6:7], v[2:3], v[10:11], v[0:1]
	v_mul_f64_e32 v[0:1], v[4:5], v[10:11]
	v_fma_f64 v[80:81], v[2:3], v[12:13], -v[0:1]
	scratch_load_b128 v[2:5], off, off offset:536 th:TH_LOAD_LU ; 16-byte Folded Reload
	ds_load_b128 v[10:13], v48 offset:22400
	s_wait_loadcnt_dscnt 0x0
	v_mul_f64_e32 v[0:1], v[4:5], v[12:13]
	s_delay_alu instid0(VALU_DEP_1) | instskip(SKIP_1) | instid1(VALU_DEP_1)
	v_fma_f64 v[82:83], v[2:3], v[10:11], v[0:1]
	v_mul_f64_e32 v[0:1], v[4:5], v[10:11]
	v_fma_f64 v[8:9], v[2:3], v[12:13], -v[0:1]
	ds_load_b128 v[10:13], v48 offset:28800
	v_add_f64_e64 v[2:3], v[38:39], -v[46:47]
	s_wait_dscnt 0x0
	v_mul_f64_e32 v[0:1], v[104:105], v[12:13]
	s_delay_alu instid0(VALU_DEP_1) | instskip(SKIP_1) | instid1(VALU_DEP_1)
	v_fma_f64 v[100:101], v[102:103], v[10:11], v[0:1]
	v_mul_f64_e32 v[0:1], v[104:105], v[10:11]
	v_fma_f64 v[102:103], v[102:103], v[12:13], -v[0:1]
	ds_load_b128 v[10:13], v48 offset:35200
	s_wait_dscnt 0x0
	v_mul_f64_e32 v[0:1], v[110:111], v[12:13]
	s_delay_alu instid0(VALU_DEP_1) | instskip(SKIP_1) | instid1(VALU_DEP_1)
	v_fma_f64 v[106:107], v[108:109], v[10:11], v[0:1]
	v_mul_f64_e32 v[0:1], v[110:111], v[10:11]
	v_fma_f64 v[104:105], v[108:109], v[12:13], -v[0:1]
	ds_load_b128 v[10:13], v48 offset:41600
	s_wait_dscnt 0x0
	v_mul_f64_e32 v[0:1], v[131:132], v[12:13]
	s_delay_alu instid0(VALU_DEP_1) | instskip(SKIP_2) | instid1(VALU_DEP_2)
	v_fma_f64 v[110:111], v[129:130], v[10:11], v[0:1]
	v_mul_f64_e32 v[0:1], v[131:132], v[10:11]
	v_add_f64_e64 v[132:133], v[36:37], -v[61:62]
	v_fma_f64 v[112:113], v[129:130], v[12:13], -v[0:1]
	ds_load_b128 v[10:13], v48 offset:48000
	v_add_f64_e64 v[130:131], v[42:43], -v[51:52]
	s_wait_dscnt 0x0
	v_mul_f64_e32 v[0:1], v[127:128], v[12:13]
	s_delay_alu instid0(VALU_DEP_1) | instskip(SKIP_2) | instid1(VALU_DEP_2)
	v_fma_f64 v[114:115], v[125:126], v[10:11], v[0:1]
	v_mul_f64_e32 v[0:1], v[127:128], v[10:11]
	v_add_f64_e64 v[128:129], v[34:35], -v[59:60]
	v_fma_f64 v[108:109], v[125:126], v[12:13], -v[0:1]
	ds_load_b128 v[10:13], v48 offset:54400
	s_wait_dscnt 0x0
	v_mul_f64_e32 v[0:1], v[178:179], v[12:13]
	s_delay_alu instid0(VALU_DEP_1) | instskip(SKIP_2) | instid1(VALU_DEP_2)
	v_fma_f64 v[118:119], v[176:177], v[10:11], v[0:1]
	v_mul_f64_e32 v[0:1], v[178:179], v[10:11]
	v_add_f64_e64 v[178:179], v[32:33], -v[57:58]
	v_fma_f64 v[124:125], v[176:177], v[12:13], -v[0:1]
	ds_load_b128 v[10:13], v48 offset:60800
	v_add_f64_e64 v[176:177], v[44:45], -v[53:54]
	s_wait_dscnt 0x0
	v_mul_f64_e32 v[0:1], v[182:183], v[12:13]
	s_delay_alu instid0(VALU_DEP_1) | instskip(SKIP_2) | instid1(VALU_DEP_2)
	v_fma_f64 v[126:127], v[180:181], v[10:11], v[0:1]
	v_mul_f64_e32 v[0:1], v[182:183], v[10:11]
	v_add_f64_e64 v[182:183], v[30:31], -v[55:56]
	v_fma_f64 v[116:117], v[180:181], v[12:13], -v[0:1]
	ds_load_b128 v[10:13], v48
	v_add_f64_e32 v[0:1], v[38:39], v[46:47]
	v_add_f64_e64 v[180:181], v[40:41], -v[49:50]
	s_wait_dscnt 0x0
	v_fma_f64 v[63:64], v[14:15], -0.5, v[10:11]
	v_add_f64_e32 v[14:15], v[40:41], v[49:50]
	s_delay_alu instid0(VALU_DEP_4) | instskip(SKIP_1) | instid1(VALU_DEP_3)
	v_fma_f64 v[4:5], v[0:1], -0.5, v[10:11]
	v_add_f64_e32 v[10:11], v[10:11], v[30:31]
	v_fma_f64 v[65:66], v[14:15], -0.5, v[12:13]
	v_add_f64_e32 v[14:15], v[32:33], v[57:58]
	s_delay_alu instid0(VALU_DEP_3) | instskip(NEXT) | instid1(VALU_DEP_2)
	v_add_f64_e32 v[10:11], v[10:11], v[38:39]
	v_fma_f64 v[67:68], v[14:15], -0.5, v[12:13]
	v_add_f64_e32 v[12:13], v[12:13], v[32:33]
	v_add_f64_e32 v[14:15], v[26:27], v[34:35]
	s_delay_alu instid0(VALU_DEP_4) | instskip(NEXT) | instid1(VALU_DEP_3)
	v_add_f64_e32 v[10:11], v[10:11], v[46:47]
	v_add_f64_e32 v[12:13], v[12:13], v[40:41]
	s_delay_alu instid0(VALU_DEP_3) | instskip(NEXT) | instid1(VALU_DEP_3)
	v_add_f64_e32 v[14:15], v[14:15], v[42:43]
	v_add_f64_e32 v[18:19], v[10:11], v[55:56]
	s_delay_alu instid0(VALU_DEP_3) | instskip(NEXT) | instid1(VALU_DEP_3)
	v_add_f64_e32 v[12:13], v[12:13], v[49:50]
	v_add_f64_e32 v[14:15], v[14:15], v[51:52]
	s_delay_alu instid0(VALU_DEP_2) | instskip(NEXT) | instid1(VALU_DEP_2)
	v_add_f64_e32 v[20:21], v[12:13], v[57:58]
	v_add_f64_e32 v[14:15], v[14:15], v[59:60]
	s_delay_alu instid0(VALU_DEP_2) | instskip(NEXT) | instid1(VALU_DEP_2)
	v_add_f64_e32 v[12:13], v[20:21], v[16:17]
	v_add_f64_e32 v[10:11], v[18:19], v[14:15]
	v_add_f64_e64 v[14:15], v[18:19], -v[14:15]
	v_add_f64_e64 v[16:17], v[20:21], -v[16:17]
	;; [unrolled: 1-line block ×4, first 2 shown]
	s_delay_alu instid0(VALU_DEP_1) | instskip(SKIP_4) | instid1(VALU_DEP_3)
	v_add_f64_e32 v[69:70], v[18:19], v[20:21]
	v_add_f64_e64 v[18:19], v[32:33], -v[40:41]
	v_add_f64_e64 v[20:21], v[57:58], -v[49:50]
	;; [unrolled: 1-line block ×4, first 2 shown]
	v_add_f64_e32 v[71:72], v[18:19], v[20:21]
	v_add_f64_e64 v[18:19], v[34:35], -v[42:43]
	v_add_f64_e64 v[20:21], v[59:60], -v[51:52]
	v_add_f64_e32 v[34:35], v[34:35], v[59:60]
	s_delay_alu instid0(VALU_DEP_2) | instskip(SKIP_2) | instid1(VALU_DEP_4)
	v_add_f64_e32 v[73:74], v[18:19], v[20:21]
	v_add_f64_e64 v[18:19], v[36:37], -v[44:45]
	v_add_f64_e64 v[20:21], v[61:62], -v[53:54]
	v_fma_f64 v[34:35], v[34:35], -0.5, v[26:27]
	s_delay_alu instid0(VALU_DEP_2) | instskip(SKIP_3) | instid1(VALU_DEP_3)
	v_add_f64_e32 v[75:76], v[18:19], v[20:21]
	v_add_f64_e32 v[18:19], v[42:43], v[51:52]
	v_add_f64_e64 v[42:43], v[51:52], -v[59:60]
	v_add_f64_e64 v[59:60], v[80:81], -v[124:125]
	v_fma_f64 v[77:78], v[18:19], -0.5, v[26:27]
	v_add_f64_e32 v[18:19], v[44:45], v[53:54]
	v_add_f64_e64 v[44:45], v[44:45], -v[36:37]
	v_add_f64_e32 v[36:37], v[36:37], v[61:62]
	v_add_f64_e32 v[40:41], v[40:41], v[42:43]
	v_fma_f64 v[20:21], v[132:133], s[18:19], v[77:78]
	v_fma_f64 v[86:87], v[18:19], -0.5, v[28:29]
	s_delay_alu instid0(VALU_DEP_4)
	v_fma_f64 v[36:37], v[36:37], -0.5, v[28:29]
	v_fma_f64 v[28:29], v[176:177], s[16:17], v[34:35]
	v_fma_f64 v[34:35], v[176:177], s[18:19], v[34:35]
	;; [unrolled: 1-line block ×15, first 2 shown]
	s_delay_alu instid0(VALU_DEP_1) | instskip(SKIP_1) | instid1(VALU_DEP_2)
	v_mul_f64_e32 v[22:23], s[12:13], v[18:19]
	v_mul_f64_e32 v[18:19], s[24:25], v[18:19]
	v_fma_f64 v[22:23], v[20:21], s[24:25], v[22:23]
	s_delay_alu instid0(VALU_DEP_2) | instskip(SKIP_3) | instid1(VALU_DEP_3)
	v_fma_f64 v[24:25], v[20:21], s[2:3], v[18:19]
	v_fma_f64 v[20:21], v[182:183], s[16:17], v[65:66]
	;; [unrolled: 1-line block ×5, first 2 shown]
	s_delay_alu instid0(VALU_DEP_3) | instskip(NEXT) | instid1(VALU_DEP_3)
	v_fma_f64 v[18:19], v[180:181], s[12:13], v[18:19]
	v_fma_f64 v[4:5], v[180:181], s[2:3], v[4:5]
	s_delay_alu instid0(VALU_DEP_3) | instskip(NEXT) | instid1(VALU_DEP_3)
	v_fma_f64 v[0:1], v[71:72], s[14:15], v[20:21]
	v_fma_f64 v[88:89], v[69:70], s[14:15], v[18:19]
	s_delay_alu instid0(VALU_DEP_3) | instskip(SKIP_1) | instid1(VALU_DEP_4)
	v_fma_f64 v[4:5], v[69:70], s[14:15], v[4:5]
	v_add_f64_e64 v[69:70], v[104:105], -v[8:9]
	v_add_f64_e32 v[20:21], v[0:1], v[24:25]
	v_add_f64_e64 v[24:25], v[0:1], -v[24:25]
	v_add_f64_e64 v[0:1], v[38:39], -v[30:31]
	;; [unrolled: 1-line block ×5, first 2 shown]
	v_add_f64_e32 v[18:19], v[88:89], v[22:23]
	v_add_f64_e64 v[22:23], v[88:89], -v[22:23]
	ds_load_b128 v[53:56], v48 offset:3200
	global_wb scope:SCOPE_SE
	s_wait_dscnt 0x0
	s_barrier_signal -1
	s_barrier_wait -1
	global_inv scope:SCOPE_SE
	v_add_f64_e64 v[57:58], v[104:105], -v[108:109]
	v_add_f64_e64 v[61:62], v[102:103], -v[112:113]
	v_add_f64_e32 v[0:1], v[0:1], v[30:31]
	v_add_f64_e32 v[42:43], v[44:45], v[46:47]
	;; [unrolled: 1-line block ×3, first 2 shown]
	s_delay_alu instid0(VALU_DEP_2) | instskip(SKIP_3) | instid1(VALU_DEP_4)
	v_fma_f64 v[26:27], v[42:43], s[14:15], v[26:27]
	v_fma_f64 v[36:37], v[42:43], s[14:15], v[36:37]
	;; [unrolled: 1-line block ×3, first 2 shown]
	v_add_f64_e64 v[65:66], v[100:101], -v[110:111]
	v_mul_f64_e32 v[30:31], s[18:19], v[26:27]
	v_mul_f64_e32 v[26:27], s[14:15], v[26:27]
	s_delay_alu instid0(VALU_DEP_2) | instskip(NEXT) | instid1(VALU_DEP_2)
	v_fma_f64 v[30:31], v[28:29], s[14:15], v[30:31]
	v_fma_f64 v[32:33], v[28:29], s[16:17], v[26:27]
	;; [unrolled: 1-line block ×4, first 2 shown]
	s_delay_alu instid0(VALU_DEP_2) | instskip(NEXT) | instid1(VALU_DEP_2)
	v_fma_f64 v[26:27], v[178:179], s[12:13], v[26:27]
	v_fma_f64 v[28:29], v[182:183], s[2:3], v[28:29]
	s_delay_alu instid0(VALU_DEP_2) | instskip(NEXT) | instid1(VALU_DEP_2)
	v_fma_f64 v[44:45], v[0:1], s[14:15], v[26:27]
	v_fma_f64 v[46:47], v[38:39], s[14:15], v[28:29]
	s_delay_alu instid0(VALU_DEP_2) | instskip(SKIP_2) | instid1(VALU_DEP_4)
	v_add_f64_e32 v[26:27], v[44:45], v[30:31]
	v_add_f64_e64 v[30:31], v[44:45], -v[30:31]
	v_fma_f64 v[44:45], v[180:181], s[18:19], v[63:64]
	v_add_f64_e32 v[28:29], v[46:47], v[32:33]
	v_add_f64_e64 v[32:33], v[46:47], -v[32:33]
	v_add_f64_e64 v[63:64], v[6:7], -v[118:119]
	s_delay_alu instid0(VALU_DEP_4) | instskip(NEXT) | instid1(VALU_DEP_1)
	v_fma_f64 v[44:45], v[178:179], s[2:3], v[44:45]
	v_fma_f64 v[0:1], v[0:1], s[14:15], v[44:45]
	;; [unrolled: 1-line block ×4, first 2 shown]
	v_add_f64_e64 v[67:68], v[114:115], -v[126:127]
	s_delay_alu instid0(VALU_DEP_3) | instskip(NEXT) | instid1(VALU_DEP_3)
	v_fma_f64 v[44:45], v[182:183], s[12:13], v[44:45]
	v_fma_f64 v[2:3], v[71:72], s[14:15], v[2:3]
	v_add_f64_e64 v[71:72], v[108:109], -v[116:117]
	s_delay_alu instid0(VALU_DEP_3) | instskip(SKIP_2) | instid1(VALU_DEP_2)
	v_fma_f64 v[44:45], v[38:39], s[14:15], v[44:45]
	v_mul_f64_e32 v[38:39], s[18:19], v[36:37]
	v_mul_f64_e32 v[36:37], s[20:21], v[36:37]
	v_fma_f64 v[38:39], v[34:35], s[20:21], v[38:39]
	s_delay_alu instid0(VALU_DEP_2) | instskip(NEXT) | instid1(VALU_DEP_2)
	v_fma_f64 v[40:41], v[34:35], s[16:17], v[36:37]
	v_add_f64_e32 v[34:35], v[0:1], v[38:39]
	v_add_f64_e64 v[38:39], v[0:1], -v[38:39]
	v_fma_f64 v[0:1], v[128:129], s[18:19], v[86:87]
	s_delay_alu instid0(VALU_DEP_4) | instskip(SKIP_2) | instid1(VALU_DEP_4)
	v_add_f64_e32 v[36:37], v[44:45], v[40:41]
	v_add_f64_e64 v[40:41], v[44:45], -v[40:41]
	v_fma_f64 v[44:45], v[132:133], s[16:17], v[77:78]
	v_fma_f64 v[0:1], v[130:131], s[12:13], v[0:1]
	s_delay_alu instid0(VALU_DEP_2) | instskip(NEXT) | instid1(VALU_DEP_2)
	v_fma_f64 v[42:43], v[176:177], s[2:3], v[44:45]
	v_fma_f64 v[0:1], v[75:76], s[14:15], v[0:1]
	s_delay_alu instid0(VALU_DEP_2) | instskip(NEXT) | instid1(VALU_DEP_2)
	v_fma_f64 v[42:43], v[73:74], s[14:15], v[42:43]
	v_mul_f64_e32 v[44:45], s[12:13], v[0:1]
	v_mul_f64_e32 v[0:1], s[22:23], v[0:1]
	s_delay_alu instid0(VALU_DEP_2) | instskip(NEXT) | instid1(VALU_DEP_2)
	v_fma_f64 v[46:47], v[42:43], s[22:23], v[44:45]
	v_fma_f64 v[0:1], v[42:43], s[2:3], v[0:1]
	s_delay_alu instid0(VALU_DEP_2) | instskip(NEXT) | instid1(VALU_DEP_2)
	v_add_f64_e32 v[42:43], v[4:5], v[46:47]
	v_add_f64_e32 v[44:45], v[2:3], v[0:1]
	v_add_f64_e64 v[51:52], v[2:3], -v[0:1]
	v_add_f64_e32 v[0:1], v[100:101], v[110:111]
	v_add_f64_e64 v[49:50], v[4:5], -v[46:47]
	ds_store_b128 v135, v[10:13]
	ds_store_b128 v135, v[14:17] offset:800
	ds_store_b128 v135, v[18:21] offset:160
	;; [unrolled: 1-line block ×9, first 2 shown]
	v_add_f64_e32 v[2:3], v[55:56], v[80:81]
	v_add_f64_e32 v[4:5], v[90:91], v[82:83]
	;; [unrolled: 1-line block ×3, first 2 shown]
	v_add_f64_e64 v[51:52], v[82:83], -v[126:127]
	v_add_f64_e32 v[32:33], v[82:83], v[126:127]
	v_add_f64_e64 v[30:31], v[106:107], -v[82:83]
	v_fma_f64 v[34:35], v[0:1], -0.5, v[53:54]
	v_add_f64_e32 v[0:1], v[6:7], v[118:119]
	v_add_f64_e32 v[2:3], v[2:3], v[102:103]
	;; [unrolled: 1-line block ×4, first 2 shown]
	v_fma_f64 v[32:33], v[32:33], -0.5, v[90:91]
	v_add_f64_e32 v[30:31], v[30:31], v[67:68]
	v_add_f64_e32 v[67:68], v[69:70], v[71:72]
	v_fma_f64 v[26:27], v[0:1], -0.5, v[53:54]
	v_add_f64_e32 v[0:1], v[102:103], v[112:113]
	v_add_f64_e32 v[2:3], v[2:3], v[112:113]
	;; [unrolled: 1-line block ×4, first 2 shown]
	s_delay_alu instid0(VALU_DEP_4)
	v_fma_f64 v[36:37], v[0:1], -0.5, v[55:56]
	v_add_f64_e32 v[0:1], v[80:81], v[124:125]
	v_add_f64_e32 v[2:3], v[2:3], v[124:125]
	;; [unrolled: 1-line block ×4, first 2 shown]
	v_fma_f64 v[18:19], v[63:64], s[16:17], v[36:37]
	v_fma_f64 v[28:29], v[0:1], -0.5, v[55:56]
	v_add_f64_e32 v[0:1], v[53:54], v[6:7]
	v_add_f64_e64 v[53:54], v[106:107], -v[114:115]
	v_add_f64_e64 v[55:56], v[8:9], -v[116:117]
	v_fma_f64 v[36:37], v[63:64], s[18:19], v[36:37]
	v_add_f64_e32 v[12:13], v[2:3], v[16:17]
	v_add_f64_e64 v[16:17], v[2:3], -v[16:17]
	v_add_f64_e64 v[2:3], v[118:119], -v[110:111]
	v_fma_f64 v[18:19], v[65:66], s[2:3], v[18:19]
	v_add_f64_e32 v[0:1], v[0:1], v[100:101]
	v_fma_f64 v[36:37], v[65:66], s[12:13], v[36:37]
	s_delay_alu instid0(VALU_DEP_2) | instskip(NEXT) | instid1(VALU_DEP_1)
	v_add_f64_e32 v[0:1], v[0:1], v[110:111]
	v_add_f64_e32 v[0:1], v[0:1], v[118:119]
	s_delay_alu instid0(VALU_DEP_1) | instskip(SKIP_2) | instid1(VALU_DEP_1)
	v_add_f64_e32 v[10:11], v[0:1], v[4:5]
	v_add_f64_e64 v[14:15], v[0:1], -v[4:5]
	v_add_f64_e64 v[0:1], v[6:7], -v[100:101]
	v_add_f64_e32 v[38:39], v[0:1], v[2:3]
	v_add_f64_e64 v[0:1], v[80:81], -v[102:103]
	v_add_f64_e64 v[2:3], v[124:125], -v[112:113]
	s_delay_alu instid0(VALU_DEP_1) | instskip(SKIP_2) | instid1(VALU_DEP_3)
	v_add_f64_e32 v[40:41], v[0:1], v[2:3]
	v_add_f64_e64 v[0:1], v[82:83], -v[106:107]
	v_add_f64_e64 v[2:3], v[126:127], -v[114:115]
	v_fma_f64 v[24:25], v[40:41], s[14:15], v[18:19]
	v_fma_f64 v[40:41], v[40:41], s[14:15], v[36:37]
	s_delay_alu instid0(VALU_DEP_3) | instskip(SKIP_3) | instid1(VALU_DEP_2)
	v_add_f64_e32 v[42:43], v[0:1], v[2:3]
	v_add_f64_e64 v[0:1], v[8:9], -v[104:105]
	v_add_f64_e64 v[2:3], v[116:117], -v[108:109]
	v_add_f64_e32 v[8:9], v[8:9], v[116:117]
	v_add_f64_e32 v[44:45], v[0:1], v[2:3]
	;; [unrolled: 1-line block ×3, first 2 shown]
	s_delay_alu instid0(VALU_DEP_3) | instskip(NEXT) | instid1(VALU_DEP_2)
	v_fma_f64 v[8:9], v[8:9], -0.5, v[84:85]
	v_fma_f64 v[46:47], v[0:1], -0.5, v[90:91]
	v_add_f64_e32 v[0:1], v[104:105], v[108:109]
	s_delay_alu instid0(VALU_DEP_2) | instskip(NEXT) | instid1(VALU_DEP_2)
	v_fma_f64 v[2:3], v[55:56], s[18:19], v[46:47]
	v_fma_f64 v[49:50], v[0:1], -0.5, v[84:85]
	v_fma_f64 v[46:47], v[55:56], s[16:17], v[46:47]
	s_delay_alu instid0(VALU_DEP_3) | instskip(NEXT) | instid1(VALU_DEP_3)
	v_fma_f64 v[2:3], v[57:58], s[12:13], v[2:3]
	v_fma_f64 v[0:1], v[51:52], s[16:17], v[49:50]
	s_delay_alu instid0(VALU_DEP_3) | instskip(NEXT) | instid1(VALU_DEP_3)
	v_fma_f64 v[46:47], v[57:58], s[2:3], v[46:47]
	v_fma_f64 v[2:3], v[42:43], s[14:15], v[2:3]
	s_delay_alu instid0(VALU_DEP_3) | instskip(NEXT) | instid1(VALU_DEP_1)
	v_fma_f64 v[0:1], v[53:54], s[2:3], v[0:1]
	v_fma_f64 v[0:1], v[44:45], s[14:15], v[0:1]
	s_delay_alu instid0(VALU_DEP_1) | instskip(SKIP_1) | instid1(VALU_DEP_2)
	v_mul_f64_e32 v[4:5], s[12:13], v[0:1]
	v_mul_f64_e32 v[0:1], s[24:25], v[0:1]
	v_fma_f64 v[4:5], v[2:3], s[24:25], v[4:5]
	s_delay_alu instid0(VALU_DEP_2) | instskip(SKIP_2) | instid1(VALU_DEP_3)
	v_fma_f64 v[0:1], v[2:3], s[2:3], v[0:1]
	v_fma_f64 v[2:3], v[59:60], s[18:19], v[34:35]
	;; [unrolled: 1-line block ×3, first 2 shown]
	v_add_f64_e32 v[20:21], v[24:25], v[0:1]
	s_delay_alu instid0(VALU_DEP_3)
	v_fma_f64 v[2:3], v[61:62], s[12:13], v[2:3]
	v_add_f64_e64 v[24:25], v[24:25], -v[0:1]
	v_add_f64_e64 v[0:1], v[100:101], -v[6:7]
	;; [unrolled: 1-line block ×3, first 2 shown]
	v_fma_f64 v[34:35], v[61:62], s[2:3], v[34:35]
	v_fma_f64 v[2:3], v[38:39], s[14:15], v[2:3]
	s_delay_alu instid0(VALU_DEP_2) | instskip(SKIP_1) | instid1(VALU_DEP_3)
	v_fma_f64 v[38:39], v[38:39], s[14:15], v[34:35]
	v_fma_f64 v[34:35], v[42:43], s[14:15], v[46:47]
	v_add_f64_e32 v[18:19], v[2:3], v[4:5]
	v_add_f64_e64 v[22:23], v[2:3], -v[4:5]
	v_add_f64_e64 v[2:3], v[110:111], -v[118:119]
	;; [unrolled: 1-line block ×3, first 2 shown]
	s_delay_alu instid0(VALU_DEP_2) | instskip(SKIP_2) | instid1(VALU_DEP_4)
	v_add_f64_e32 v[73:74], v[0:1], v[2:3]
	v_fma_f64 v[0:1], v[53:54], s[18:19], v[8:9]
	v_fma_f64 v[2:3], v[57:58], s[16:17], v[32:33]
	v_add_f64_e32 v[75:76], v[4:5], v[6:7]
	v_fma_f64 v[8:9], v[53:54], s[16:17], v[8:9]
	s_delay_alu instid0(VALU_DEP_4) | instskip(NEXT) | instid1(VALU_DEP_4)
	v_fma_f64 v[0:1], v[51:52], s[2:3], v[0:1]
	v_fma_f64 v[2:3], v[55:56], s[12:13], v[2:3]
	s_delay_alu instid0(VALU_DEP_3) | instskip(NEXT) | instid1(VALU_DEP_3)
	v_fma_f64 v[8:9], v[51:52], s[12:13], v[8:9]
	v_fma_f64 v[0:1], v[67:68], s[14:15], v[0:1]
	s_delay_alu instid0(VALU_DEP_3) | instskip(NEXT) | instid1(VALU_DEP_3)
	v_fma_f64 v[2:3], v[30:31], s[14:15], v[2:3]
	v_fma_f64 v[8:9], v[67:68], s[14:15], v[8:9]
	s_delay_alu instid0(VALU_DEP_3) | instskip(SKIP_1) | instid1(VALU_DEP_2)
	v_mul_f64_e32 v[4:5], s[18:19], v[0:1]
	v_mul_f64_e32 v[0:1], s[14:15], v[0:1]
	v_fma_f64 v[4:5], v[2:3], s[14:15], v[4:5]
	s_delay_alu instid0(VALU_DEP_2) | instskip(SKIP_3) | instid1(VALU_DEP_3)
	v_fma_f64 v[6:7], v[2:3], s[16:17], v[0:1]
	v_fma_f64 v[0:1], v[61:62], s[16:17], v[26:27]
	;; [unrolled: 1-line block ×5, first 2 shown]
	s_delay_alu instid0(VALU_DEP_3) | instskip(NEXT) | instid1(VALU_DEP_3)
	v_fma_f64 v[26:27], v[59:60], s[2:3], v[26:27]
	v_fma_f64 v[2:3], v[63:64], s[2:3], v[2:3]
	s_delay_alu instid0(VALU_DEP_3) | instskip(NEXT) | instid1(VALU_DEP_2)
	v_fma_f64 v[69:70], v[73:74], s[14:15], v[0:1]
	v_fma_f64 v[71:72], v[75:76], s[14:15], v[2:3]
	s_delay_alu instid0(VALU_DEP_2)
	v_add_f64_e32 v[0:1], v[69:70], v[4:5]
	v_add_f64_e64 v[4:5], v[69:70], -v[4:5]
	v_fma_f64 v[69:70], v[73:74], s[14:15], v[26:27]
	v_fma_f64 v[26:27], v[65:66], s[16:17], v[28:29]
	v_add_f64_e32 v[2:3], v[71:72], v[6:7]
	v_add_f64_e64 v[6:7], v[71:72], -v[6:7]
	v_mul_f64_e32 v[28:29], s[18:19], v[8:9]
	v_mul_f64_e32 v[8:9], s[20:21], v[8:9]
	v_fma_f64 v[26:27], v[63:64], s[12:13], v[26:27]
	s_delay_alu instid0(VALU_DEP_1) | instskip(SKIP_1) | instid1(VALU_DEP_1)
	v_fma_f64 v[71:72], v[75:76], s[14:15], v[26:27]
	v_fma_f64 v[26:27], v[57:58], s[18:19], v[32:33]
	;; [unrolled: 1-line block ×3, first 2 shown]
	s_delay_alu instid0(VALU_DEP_1) | instskip(NEXT) | instid1(VALU_DEP_1)
	v_fma_f64 v[26:27], v[30:31], s[14:15], v[26:27]
	v_fma_f64 v[8:9], v[26:27], s[16:17], v[8:9]
	;; [unrolled: 1-line block ×3, first 2 shown]
	s_delay_alu instid0(VALU_DEP_2) | instskip(SKIP_2) | instid1(VALU_DEP_4)
	v_add_f64_e32 v[28:29], v[71:72], v[8:9]
	v_add_f64_e64 v[32:33], v[71:72], -v[8:9]
	v_fma_f64 v[8:9], v[51:52], s[18:19], v[49:50]
	v_add_f64_e32 v[26:27], v[69:70], v[30:31]
	v_add_f64_e64 v[30:31], v[69:70], -v[30:31]
	s_delay_alu instid0(VALU_DEP_3) | instskip(NEXT) | instid1(VALU_DEP_1)
	v_fma_f64 v[8:9], v[53:54], s[12:13], v[8:9]
	v_fma_f64 v[8:9], v[44:45], s[14:15], v[8:9]
	s_delay_alu instid0(VALU_DEP_1) | instskip(SKIP_1) | instid1(VALU_DEP_2)
	v_mul_f64_e32 v[36:37], s[12:13], v[8:9]
	v_mul_f64_e32 v[8:9], s[22:23], v[8:9]
	v_fma_f64 v[42:43], v[34:35], s[22:23], v[36:37]
	s_delay_alu instid0(VALU_DEP_2) | instskip(NEXT) | instid1(VALU_DEP_2)
	v_fma_f64 v[8:9], v[34:35], s[2:3], v[8:9]
	v_add_f64_e32 v[34:35], v[38:39], v[42:43]
	s_delay_alu instid0(VALU_DEP_2)
	v_add_f64_e32 v[36:37], v[40:41], v[8:9]
	v_add_f64_e64 v[38:39], v[38:39], -v[42:43]
	v_add_f64_e64 v[40:41], v[40:41], -v[8:9]
	ds_store_b128 v134, v[10:13]
	ds_store_b128 v134, v[18:21] offset:160
	ds_store_b128 v134, v[0:3] offset:320
	ds_store_b128 v134, v[26:29] offset:480
	ds_store_b128 v134, v[34:37] offset:640
	ds_store_b128 v134, v[14:17] offset:800
	ds_store_b128 v134, v[22:25] offset:960
	ds_store_b128 v134, v[4:7] offset:1120
	ds_store_b128 v134, v[30:33] offset:1280
	ds_store_b128 v134, v[38:41] offset:1440
	global_wb scope:SCOPE_SE
	s_wait_dscnt 0x0
	s_barrier_signal -1
	s_barrier_wait -1
	global_inv scope:SCOPE_SE
	ds_load_b128 v[0:3], v48 offset:6400
	ds_load_b128 v[6:9], v48 offset:16000
	scratch_load_b128 v[38:41], off, off offset:568 th:TH_LOAD_LU ; 16-byte Folded Reload
	ds_load_b128 v[22:25], v48 offset:22400
	ds_load_b128 v[30:33], v48 offset:48000
	;; [unrolled: 1-line block ×3, first 2 shown]
	s_wait_dscnt 0x4
	v_mul_f64_e32 v[4:5], v[218:219], v[2:3]
	s_delay_alu instid0(VALU_DEP_1) | instskip(SKIP_1) | instid1(VALU_DEP_1)
	v_fma_f64 v[80:81], v[216:217], v[0:1], v[4:5]
	v_mul_f64_e32 v[0:1], v[218:219], v[0:1]
	v_fma_f64 v[82:83], v[216:217], v[2:3], -v[0:1]
	ds_load_b128 v[0:3], v48 offset:12800
	s_wait_dscnt 0x0
	v_mul_f64_e32 v[4:5], v[222:223], v[2:3]
	s_delay_alu instid0(VALU_DEP_1) | instskip(SKIP_1) | instid1(VALU_DEP_1)
	v_fma_f64 v[100:101], v[220:221], v[0:1], v[4:5]
	v_mul_f64_e32 v[0:1], v[222:223], v[0:1]
	v_fma_f64 v[102:103], v[220:221], v[2:3], -v[0:1]
	ds_load_b128 v[0:3], v48 offset:19200
	;; [unrolled: 7-line block ×3, first 2 shown]
	s_wait_dscnt 0x0
	v_mul_f64_e32 v[4:5], v[226:227], v[2:3]
	v_add_f64_e32 v[46:47], v[82:83], v[106:107]
	s_delay_alu instid0(VALU_DEP_2) | instskip(SKIP_1) | instid1(VALU_DEP_1)
	v_fma_f64 v[108:109], v[224:225], v[0:1], v[4:5]
	v_mul_f64_e32 v[0:1], v[226:227], v[0:1]
	v_fma_f64 v[110:111], v[224:225], v[2:3], -v[0:1]
	ds_load_b128 v[0:3], v48 offset:32000
	s_wait_dscnt 0x0
	v_mul_f64_e32 v[4:5], v[238:239], v[2:3]
	v_add_f64_e64 v[61:62], v[110:111], -v[102:103]
	s_delay_alu instid0(VALU_DEP_2) | instskip(SKIP_1) | instid1(VALU_DEP_1)
	v_fma_f64 v[112:113], v[236:237], v[0:1], v[4:5]
	v_mul_f64_e32 v[0:1], v[238:239], v[0:1]
	v_fma_f64 v[114:115], v[236:237], v[2:3], -v[0:1]
	ds_load_b128 v[0:3], v48 offset:38400
	s_wait_dscnt 0x0
	v_mul_f64_e32 v[4:5], v[234:235], v[2:3]
	v_add_f64_e32 v[46:47], v[46:47], v[114:115]
	v_add_f64_e64 v[67:68], v[114:115], -v[106:107]
	s_delay_alu instid0(VALU_DEP_3) | instskip(SKIP_1) | instid1(VALU_DEP_1)
	v_fma_f64 v[118:119], v[232:233], v[0:1], v[4:5]
	v_mul_f64_e32 v[0:1], v[234:235], v[0:1]
	v_fma_f64 v[124:125], v[232:233], v[2:3], -v[0:1]
	ds_load_b128 v[0:3], v48 offset:44800
	s_wait_dscnt 0x0
	v_mul_f64_e32 v[4:5], v[242:243], v[2:3]
	v_add_f64_e32 v[44:45], v[110:111], v[124:125]
	s_delay_alu instid0(VALU_DEP_2) | instskip(SKIP_1) | instid1(VALU_DEP_2)
	v_fma_f64 v[116:117], v[240:241], v[0:1], v[4:5]
	v_mul_f64_e32 v[0:1], v[242:243], v[0:1]
	v_add_f64_e64 v[137:138], v[112:113], -v[116:117]
	s_delay_alu instid0(VALU_DEP_2) | instskip(SKIP_4) | instid1(VALU_DEP_2)
	v_fma_f64 v[126:127], v[240:241], v[2:3], -v[0:1]
	ds_load_b128 v[0:3], v48 offset:51200
	s_wait_dscnt 0x0
	v_mul_f64_e32 v[4:5], v[246:247], v[2:3]
	v_add_f64_e32 v[46:47], v[46:47], v[126:127]
	v_fma_f64 v[130:131], v[244:245], v[0:1], v[4:5]
	v_mul_f64_e32 v[0:1], v[246:247], v[0:1]
	s_delay_alu instid0(VALU_DEP_1) | instskip(SKIP_4) | instid1(VALU_DEP_2)
	v_fma_f64 v[132:133], v[244:245], v[2:3], -v[0:1]
	ds_load_b128 v[0:3], v48 offset:57600
	s_wait_dscnt 0x0
	v_mul_f64_e32 v[4:5], v[250:251], v[2:3]
	v_add_f64_e64 v[63:64], v[124:125], -v[132:133]
	v_fma_f64 v[128:129], v[248:249], v[0:1], v[4:5]
	v_mul_f64_e32 v[0:1], v[250:251], v[0:1]
	s_delay_alu instid0(VALU_DEP_2) | instskip(NEXT) | instid1(VALU_DEP_2)
	v_add_f64_e64 v[93:94], v[104:105], -v[128:129]
	v_fma_f64 v[134:135], v[248:249], v[2:3], -v[0:1]
	ds_load_b128 v[0:3], v48 offset:9600
	s_wait_dscnt 0x0
	v_mul_f64_e32 v[4:5], v[170:171], v[2:3]
	v_add_f64_e32 v[46:47], v[46:47], v[134:135]
	v_add_f64_e32 v[69:70], v[106:107], v[134:135]
	v_add_f64_e64 v[71:72], v[126:127], -v[134:135]
	s_delay_alu instid0(VALU_DEP_4) | instskip(SKIP_1) | instid1(VALU_DEP_4)
	v_fma_f64 v[42:43], v[168:169], v[0:1], v[4:5]
	v_mul_f64_e32 v[0:1], v[170:171], v[0:1]
	v_fma_f64 v[69:70], v[69:70], -0.5, v[82:83]
	s_delay_alu instid0(VALU_DEP_4) | instskip(NEXT) | instid1(VALU_DEP_3)
	v_add_f64_e32 v[67:68], v[67:68], v[71:72]
	v_fma_f64 v[2:3], v[168:169], v[2:3], -v[0:1]
	v_mul_f64_e32 v[0:1], v[158:159], v[8:9]
	s_delay_alu instid0(VALU_DEP_1) | instskip(SKIP_2) | instid1(VALU_DEP_2)
	v_fma_f64 v[4:5], v[156:157], v[6:7], v[0:1]
	v_mul_f64_e32 v[0:1], v[158:159], v[6:7]
	v_add_f64_e64 v[158:159], v[108:109], -v[118:119]
	v_fma_f64 v[6:7], v[156:157], v[8:9], -v[0:1]
	ds_load_b128 v[8:11], v48 offset:28800
	v_add_f64_e64 v[156:157], v[100:101], -v[130:131]
	s_wait_dscnt 0x0
	v_mul_f64_e32 v[0:1], v[162:163], v[10:11]
	s_delay_alu instid0(VALU_DEP_1) | instskip(SKIP_1) | instid1(VALU_DEP_1)
	v_fma_f64 v[16:17], v[160:161], v[8:9], v[0:1]
	v_mul_f64_e32 v[0:1], v[162:163], v[8:9]
	v_fma_f64 v[18:19], v[160:161], v[10:11], -v[0:1]
	ds_load_b128 v[8:11], v48 offset:41600
	s_wait_dscnt 0x0
	v_mul_f64_e32 v[0:1], v[154:155], v[10:11]
	s_delay_alu instid0(VALU_DEP_1) | instskip(SKIP_2) | instid1(VALU_DEP_2)
	v_fma_f64 v[20:21], v[152:153], v[8:9], v[0:1]
	v_mul_f64_e32 v[0:1], v[154:155], v[8:9]
	v_add_f64_e64 v[154:155], v[110:111], -v[124:125]
	v_fma_f64 v[12:13], v[152:153], v[10:11], -v[0:1]
	ds_load_b128 v[8:11], v48 offset:54400
	v_add_f64_e64 v[152:153], v[102:103], -v[132:133]
	s_wait_dscnt 0x0
	v_mul_f64_e32 v[0:1], v[150:151], v[10:11]
	s_delay_alu instid0(VALU_DEP_1) | instskip(SKIP_2) | instid1(VALU_DEP_2)
	v_fma_f64 v[14:15], v[148:149], v[8:9], v[0:1]
	v_mul_f64_e32 v[0:1], v[150:151], v[8:9]
	v_add_f64_e64 v[150:151], v[114:115], -v[126:127]
	v_fma_f64 v[8:9], v[148:149], v[10:11], -v[0:1]
	v_mul_f64_e32 v[0:1], v[254:255], v[24:25]
	v_add_f64_e64 v[148:149], v[106:107], -v[134:135]
	s_delay_alu instid0(VALU_DEP_2) | instskip(SKIP_1) | instid1(VALU_DEP_1)
	v_fma_f64 v[10:11], v[252:253], v[22:23], v[0:1]
	v_mul_f64_e32 v[0:1], v[254:255], v[22:23]
	v_fma_f64 v[22:23], v[252:253], v[24:25], -v[0:1]
	ds_load_b128 v[24:27], v48 offset:35200
	s_wait_dscnt 0x0
	v_mul_f64_e32 v[0:1], v[166:167], v[26:27]
	s_delay_alu instid0(VALU_DEP_1) | instskip(SKIP_1) | instid1(VALU_DEP_1)
	v_fma_f64 v[28:29], v[164:165], v[24:25], v[0:1]
	v_mul_f64_e32 v[0:1], v[166:167], v[24:25]
	v_fma_f64 v[24:25], v[164:165], v[26:27], -v[0:1]
	v_mul_f64_e32 v[0:1], v[214:215], v[32:33]
	s_delay_alu instid0(VALU_DEP_1) | instskip(SKIP_1) | instid1(VALU_DEP_1)
	v_fma_f64 v[26:27], v[212:213], v[30:31], v[0:1]
	v_mul_f64_e32 v[0:1], v[214:215], v[30:31]
	v_fma_f64 v[30:31], v[212:213], v[32:33], -v[0:1]
	s_wait_loadcnt 0x0
	v_mul_f64_e32 v[0:1], v[40:41], v[36:37]
	s_delay_alu instid0(VALU_DEP_1) | instskip(SKIP_2) | instid1(VALU_DEP_2)
	v_fma_f64 v[32:33], v[38:39], v[34:35], v[0:1]
	v_mul_f64_e32 v[0:1], v[40:41], v[34:35]
	v_add_f64_e32 v[40:41], v[100:101], v[130:131]
	v_fma_f64 v[34:35], v[38:39], v[36:37], -v[0:1]
	ds_load_b128 v[36:39], v48
	v_add_f64_e32 v[0:1], v[108:109], v[118:119]
	s_wait_dscnt 0x0
	v_fma_f64 v[73:74], v[44:45], -0.5, v[38:39]
	v_add_f64_e32 v[44:45], v[102:103], v[132:133]
	v_fma_f64 v[40:41], v[40:41], -0.5, v[36:37]
	s_delay_alu instid0(VALU_DEP_4) | instskip(SKIP_1) | instid1(VALU_DEP_4)
	v_fma_f64 v[0:1], v[0:1], -0.5, v[36:37]
	v_add_f64_e32 v[36:37], v[36:37], v[100:101]
	v_fma_f64 v[65:66], v[44:45], -0.5, v[38:39]
	v_add_f64_e32 v[38:39], v[38:39], v[102:103]
	v_add_f64_e32 v[44:45], v[80:81], v[104:105]
	s_delay_alu instid0(VALU_DEP_4) | instskip(NEXT) | instid1(VALU_DEP_3)
	v_add_f64_e32 v[36:37], v[36:37], v[108:109]
	v_add_f64_e32 v[38:39], v[38:39], v[110:111]
	s_delay_alu instid0(VALU_DEP_3) | instskip(NEXT) | instid1(VALU_DEP_3)
	v_add_f64_e32 v[44:45], v[44:45], v[112:113]
	v_add_f64_e32 v[36:37], v[36:37], v[118:119]
	s_delay_alu instid0(VALU_DEP_3) | instskip(NEXT) | instid1(VALU_DEP_3)
	;; [unrolled: 3-line block ×3, first 2 shown]
	v_add_f64_e32 v[49:50], v[36:37], v[130:131]
	v_add_f64_e32 v[51:52], v[38:39], v[132:133]
	s_delay_alu instid0(VALU_DEP_3) | instskip(NEXT) | instid1(VALU_DEP_2)
	v_add_f64_e32 v[44:45], v[44:45], v[128:129]
	v_add_f64_e32 v[38:39], v[51:52], v[46:47]
	s_delay_alu instid0(VALU_DEP_2) | instskip(SKIP_4) | instid1(VALU_DEP_1)
	v_add_f64_e32 v[36:37], v[49:50], v[44:45]
	v_add_f64_e64 v[44:45], v[49:50], -v[44:45]
	v_add_f64_e64 v[46:47], v[51:52], -v[46:47]
	;; [unrolled: 1-line block ×4, first 2 shown]
	v_add_f64_e32 v[75:76], v[49:50], v[51:52]
	v_add_f64_e64 v[49:50], v[102:103], -v[110:111]
	v_add_f64_e64 v[51:52], v[132:133], -v[124:125]
	;; [unrolled: 1-line block ×3, first 2 shown]
	s_delay_alu instid0(VALU_DEP_2) | instskip(SKIP_2) | instid1(VALU_DEP_1)
	v_add_f64_e32 v[77:78], v[49:50], v[51:52]
	v_add_f64_e64 v[49:50], v[104:105], -v[112:113]
	v_add_f64_e64 v[51:52], v[128:129], -v[116:117]
	v_add_f64_e32 v[84:85], v[49:50], v[51:52]
	v_add_f64_e64 v[49:50], v[106:107], -v[114:115]
	v_add_f64_e64 v[51:52], v[134:135], -v[126:127]
	v_add_f64_e32 v[106:107], v[61:62], v[63:64]
	s_delay_alu instid0(VALU_DEP_2) | instskip(SKIP_1) | instid1(VALU_DEP_1)
	v_add_f64_e32 v[86:87], v[49:50], v[51:52]
	v_add_f64_e32 v[49:50], v[112:113], v[116:117]
	v_fma_f64 v[88:89], v[49:50], -0.5, v[80:81]
	v_add_f64_e32 v[49:50], v[114:115], v[126:127]
	s_delay_alu instid0(VALU_DEP_2) | instskip(NEXT) | instid1(VALU_DEP_2)
	v_fma_f64 v[51:52], v[148:149], s[18:19], v[88:89]
	v_fma_f64 v[90:91], v[49:50], -0.5, v[82:83]
	s_delay_alu instid0(VALU_DEP_2) | instskip(NEXT) | instid1(VALU_DEP_2)
	v_fma_f64 v[51:52], v[150:151], s[12:13], v[51:52]
	v_fma_f64 v[49:50], v[93:94], s[16:17], v[90:91]
	s_delay_alu instid0(VALU_DEP_2) | instskip(NEXT) | instid1(VALU_DEP_2)
	v_fma_f64 v[51:52], v[84:85], s[14:15], v[51:52]
	v_fma_f64 v[49:50], v[137:138], s[2:3], v[49:50]
	s_delay_alu instid0(VALU_DEP_1) | instskip(NEXT) | instid1(VALU_DEP_1)
	v_fma_f64 v[49:50], v[86:87], s[14:15], v[49:50]
	v_mul_f64_e32 v[53:54], s[12:13], v[49:50]
	v_mul_f64_e32 v[49:50], s[24:25], v[49:50]
	s_delay_alu instid0(VALU_DEP_2) | instskip(NEXT) | instid1(VALU_DEP_2)
	v_fma_f64 v[53:54], v[51:52], s[24:25], v[53:54]
	v_fma_f64 v[55:56], v[51:52], s[2:3], v[49:50]
	v_fma_f64 v[49:50], v[152:153], s[18:19], v[0:1]
	v_fma_f64 v[51:52], v[156:157], s[16:17], v[73:74]
	v_fma_f64 v[0:1], v[152:153], s[16:17], v[0:1]
	v_fma_f64 v[73:74], v[156:157], s[18:19], v[73:74]
	s_delay_alu instid0(VALU_DEP_4) | instskip(NEXT) | instid1(VALU_DEP_4)
	v_fma_f64 v[49:50], v[154:155], s[12:13], v[49:50]
	v_fma_f64 v[51:52], v[158:159], s[2:3], v[51:52]
	s_delay_alu instid0(VALU_DEP_4) | instskip(NEXT) | instid1(VALU_DEP_4)
	v_fma_f64 v[0:1], v[154:155], s[2:3], v[0:1]
	v_fma_f64 v[73:74], v[158:159], s[12:13], v[73:74]
	;; [unrolled: 3-line block ×3, first 2 shown]
	s_delay_alu instid0(VALU_DEP_4) | instskip(NEXT) | instid1(VALU_DEP_3)
	v_fma_f64 v[0:1], v[75:76], s[14:15], v[0:1]
	v_add_f64_e32 v[49:50], v[57:58], v[53:54]
	s_delay_alu instid0(VALU_DEP_3)
	v_add_f64_e32 v[51:52], v[59:60], v[55:56]
	v_add_f64_e64 v[53:54], v[57:58], -v[53:54]
	v_add_f64_e64 v[55:56], v[59:60], -v[55:56]
	;; [unrolled: 1-line block ×5, first 2 shown]
	v_add_f64_e32 v[104:105], v[104:105], v[128:129]
	s_delay_alu instid0(VALU_DEP_3) | instskip(SKIP_1) | instid1(VALU_DEP_3)
	v_add_f64_e32 v[82:83], v[57:58], v[59:60]
	v_fma_f64 v[57:58], v[137:138], s[18:19], v[69:70]
	v_fma_f64 v[71:72], v[104:105], -0.5, v[80:81]
	v_add_f64_e32 v[100:101], v[100:101], v[102:103]
	v_fma_f64 v[69:70], v[137:138], s[16:17], v[69:70]
	s_delay_alu instid0(VALU_DEP_4) | instskip(NEXT) | instid1(VALU_DEP_4)
	v_fma_f64 v[57:58], v[93:94], s[2:3], v[57:58]
	v_fma_f64 v[59:60], v[150:151], s[16:17], v[71:72]
	s_delay_alu instid0(VALU_DEP_3) | instskip(NEXT) | instid1(VALU_DEP_3)
	v_fma_f64 v[69:70], v[93:94], s[12:13], v[69:70]
	v_fma_f64 v[57:58], v[67:68], s[14:15], v[57:58]
	s_delay_alu instid0(VALU_DEP_3) | instskip(NEXT) | instid1(VALU_DEP_3)
	v_fma_f64 v[59:60], v[148:149], s[12:13], v[59:60]
	v_fma_f64 v[67:68], v[67:68], s[14:15], v[69:70]
	;; [unrolled: 1-line block ×3, first 2 shown]
	s_delay_alu instid0(VALU_DEP_4) | instskip(NEXT) | instid1(VALU_DEP_4)
	v_mul_f64_e32 v[61:62], s[18:19], v[57:58]
	v_fma_f64 v[59:60], v[100:101], s[14:15], v[59:60]
	v_mul_f64_e32 v[57:58], s[14:15], v[57:58]
	s_delay_alu instid0(VALU_DEP_4) | instskip(NEXT) | instid1(VALU_DEP_3)
	v_fma_f64 v[69:70], v[148:149], s[2:3], v[69:70]
	v_fma_f64 v[61:62], v[59:60], s[14:15], v[61:62]
	s_delay_alu instid0(VALU_DEP_3)
	v_fma_f64 v[63:64], v[59:60], s[16:17], v[57:58]
	v_fma_f64 v[57:58], v[154:155], s[16:17], v[40:41]
	v_fma_f64 v[59:60], v[158:159], s[18:19], v[65:66]
	v_fma_f64 v[65:66], v[158:159], s[16:17], v[65:66]
	v_fma_f64 v[40:41], v[154:155], s[18:19], v[40:41]
	v_fma_f64 v[69:70], v[100:101], s[14:15], v[69:70]
	v_fma_f64 v[57:58], v[152:153], s[12:13], v[57:58]
	v_fma_f64 v[59:60], v[156:157], s[2:3], v[59:60]
	v_fma_f64 v[65:66], v[156:157], s[12:13], v[65:66]
	v_fma_f64 v[40:41], v[152:153], s[2:3], v[40:41]
	s_delay_alu instid0(VALU_DEP_4) | instskip(NEXT) | instid1(VALU_DEP_4)
	v_fma_f64 v[79:80], v[82:83], s[14:15], v[57:58]
	v_fma_f64 v[102:103], v[106:107], s[14:15], v[59:60]
	s_delay_alu instid0(VALU_DEP_4)
	v_fma_f64 v[71:72], v[106:107], s[14:15], v[65:66]
	v_mul_f64_e32 v[65:66], s[18:19], v[67:68]
	v_fma_f64 v[40:41], v[82:83], s[14:15], v[40:41]
	v_mul_f64_e32 v[67:68], s[20:21], v[67:68]
	v_add_f64_e32 v[57:58], v[79:80], v[61:62]
	v_add_f64_e64 v[61:62], v[79:80], -v[61:62]
	v_add_f64_e32 v[59:60], v[102:103], v[63:64]
	v_fma_f64 v[79:80], v[69:70], s[20:21], v[65:66]
	v_add_f64_e64 v[63:64], v[102:103], -v[63:64]
	v_fma_f64 v[81:82], v[69:70], s[16:17], v[67:68]
	ds_load_b128 v[100:103], v48 offset:3200
	global_wb scope:SCOPE_SE
	s_wait_dscnt 0x0
	s_barrier_signal -1
	s_barrier_wait -1
	global_inv scope:SCOPE_SE
	v_add_f64_e32 v[65:66], v[40:41], v[79:80]
	v_add_f64_e64 v[69:70], v[40:41], -v[79:80]
	v_fma_f64 v[40:41], v[93:94], s[18:19], v[90:91]
	v_fma_f64 v[79:80], v[148:149], s[16:17], v[88:89]
	v_add_f64_e32 v[67:68], v[71:72], v[81:82]
	v_add_f64_e64 v[71:72], v[71:72], -v[81:82]
	v_add_f64_e64 v[81:82], v[24:25], -v[30:31]
	;; [unrolled: 1-line block ×3, first 2 shown]
	v_fma_f64 v[40:41], v[137:138], s[12:13], v[40:41]
	v_fma_f64 v[79:80], v[150:151], s[2:3], v[79:80]
	s_delay_alu instid0(VALU_DEP_2) | instskip(NEXT) | instid1(VALU_DEP_2)
	v_fma_f64 v[40:41], v[86:87], s[14:15], v[40:41]
	v_fma_f64 v[75:76], v[84:85], s[14:15], v[79:80]
	;; [unrolled: 1-line block ×3, first 2 shown]
	v_add_f64_e64 v[83:84], v[6:7], -v[8:9]
	v_add_f64_e64 v[87:88], v[4:5], -v[14:15]
	;; [unrolled: 1-line block ×3, first 2 shown]
	v_mul_f64_e32 v[73:74], s[12:13], v[40:41]
	v_mul_f64_e32 v[40:41], s[22:23], v[40:41]
	s_delay_alu instid0(VALU_DEP_2) | instskip(NEXT) | instid1(VALU_DEP_2)
	v_fma_f64 v[77:78], v[75:76], s[22:23], v[73:74]
	v_fma_f64 v[40:41], v[75:76], s[2:3], v[40:41]
	s_delay_alu instid0(VALU_DEP_2) | instskip(SKIP_2) | instid1(VALU_DEP_4)
	v_add_f64_e32 v[73:74], v[0:1], v[77:78]
	v_add_f64_e64 v[77:78], v[0:1], -v[77:78]
	v_add_f64_e32 v[0:1], v[16:17], v[20:21]
	v_add_f64_e32 v[75:76], v[79:80], v[40:41]
	v_add_f64_e64 v[79:80], v[79:80], -v[40:41]
	ds_store_b128 v136, v[36:39]
	ds_store_b128 v136, v[44:47] offset:8000
	ds_store_b128 v136, v[49:52] offset:1600
	;; [unrolled: 1-line block ×9, first 2 shown]
	v_add_f64_e32 v[38:39], v[42:43], v[10:11]
	v_add_f64_e32 v[36:37], v[102:103], v[6:7]
	;; [unrolled: 1-line block ×3, first 2 shown]
	v_fma_f64 v[40:41], v[0:1], -0.5, v[100:101]
	v_add_f64_e32 v[0:1], v[4:5], v[14:15]
	v_add_f64_e64 v[75:76], v[10:11], -v[32:33]
	v_add_f64_e64 v[77:78], v[28:29], -v[26:27]
	;; [unrolled: 1-line block ×3, first 2 shown]
	v_add_f64_e32 v[38:39], v[38:39], v[28:29]
	v_add_f64_e32 v[36:37], v[36:37], v[18:19]
	;; [unrolled: 1-line block ×3, first 2 shown]
	v_fma_f64 v[57:58], v[0:1], -0.5, v[100:101]
	v_add_f64_e32 v[0:1], v[18:19], v[12:13]
	v_add_f64_e32 v[38:39], v[38:39], v[26:27]
	;; [unrolled: 1-line block ×4, first 2 shown]
	s_delay_alu instid0(VALU_DEP_4) | instskip(SKIP_4) | instid1(VALU_DEP_4)
	v_fma_f64 v[59:60], v[0:1], -0.5, v[102:103]
	v_add_f64_e32 v[0:1], v[6:7], v[8:9]
	v_add_f64_e32 v[49:50], v[38:39], v[32:33]
	v_add_f64_e32 v[46:47], v[36:37], v[8:9]
	v_add_f64_e32 v[51:52], v[44:45], v[34:35]
	v_fma_f64 v[61:62], v[0:1], -0.5, v[102:103]
	v_add_f64_e32 v[0:1], v[100:101], v[4:5]
	s_delay_alu instid0(VALU_DEP_3) | instskip(SKIP_1) | instid1(VALU_DEP_3)
	v_add_f64_e32 v[38:39], v[46:47], v[51:52]
	v_add_f64_e64 v[46:47], v[46:47], -v[51:52]
	v_add_f64_e32 v[0:1], v[0:1], v[16:17]
	s_delay_alu instid0(VALU_DEP_1) | instskip(NEXT) | instid1(VALU_DEP_1)
	v_add_f64_e32 v[0:1], v[0:1], v[20:21]
	v_add_f64_e32 v[0:1], v[0:1], v[14:15]
	s_delay_alu instid0(VALU_DEP_1) | instskip(SKIP_3) | instid1(VALU_DEP_1)
	v_add_f64_e32 v[36:37], v[0:1], v[49:50]
	v_add_f64_e64 v[44:45], v[0:1], -v[49:50]
	v_add_f64_e64 v[0:1], v[4:5], -v[16:17]
	;; [unrolled: 1-line block ×3, first 2 shown]
	v_add_f64_e32 v[63:64], v[0:1], v[49:50]
	v_add_f64_e64 v[0:1], v[6:7], -v[18:19]
	v_add_f64_e64 v[49:50], v[8:9], -v[12:13]
	v_add_f64_e64 v[6:7], v[18:19], -v[6:7]
	v_add_f64_e64 v[18:19], v[28:29], -v[10:11]
	v_add_f64_e64 v[8:9], v[12:13], -v[8:9]
	v_add_f64_e64 v[12:13], v[24:25], -v[22:23]
	v_add_f64_e32 v[65:66], v[0:1], v[49:50]
	v_add_f64_e64 v[0:1], v[10:11], -v[28:29]
	v_add_f64_e64 v[49:50], v[32:33], -v[26:27]
	v_add_f64_e32 v[10:11], v[10:11], v[32:33]
	v_add_f64_e32 v[8:9], v[6:7], v[8:9]
	s_delay_alu instid0(VALU_DEP_3) | instskip(SKIP_3) | instid1(VALU_DEP_2)
	v_add_f64_e32 v[67:68], v[0:1], v[49:50]
	v_add_f64_e64 v[0:1], v[22:23], -v[24:25]
	v_add_f64_e64 v[49:50], v[34:35], -v[30:31]
	v_fma_f64 v[10:11], v[10:11], -0.5, v[42:43]
	v_add_f64_e32 v[69:70], v[0:1], v[49:50]
	v_add_f64_e32 v[0:1], v[28:29], v[26:27]
	s_delay_alu instid0(VALU_DEP_1) | instskip(SKIP_1) | instid1(VALU_DEP_2)
	v_fma_f64 v[71:72], v[0:1], -0.5, v[42:43]
	v_add_f64_e32 v[0:1], v[24:25], v[30:31]
	v_fma_f64 v[49:50], v[79:80], s[18:19], v[71:72]
	s_delay_alu instid0(VALU_DEP_2) | instskip(NEXT) | instid1(VALU_DEP_2)
	v_fma_f64 v[73:74], v[0:1], -0.5, v[2:3]
	v_fma_f64 v[49:50], v[81:82], s[12:13], v[49:50]
	s_delay_alu instid0(VALU_DEP_2) | instskip(NEXT) | instid1(VALU_DEP_2)
	v_fma_f64 v[0:1], v[75:76], s[16:17], v[73:74]
	v_fma_f64 v[49:50], v[67:68], s[14:15], v[49:50]
	s_delay_alu instid0(VALU_DEP_2) | instskip(NEXT) | instid1(VALU_DEP_1)
	v_fma_f64 v[0:1], v[77:78], s[2:3], v[0:1]
	v_fma_f64 v[0:1], v[69:70], s[14:15], v[0:1]
	s_delay_alu instid0(VALU_DEP_1) | instskip(SKIP_1) | instid1(VALU_DEP_2)
	v_mul_f64_e32 v[51:52], s[12:13], v[0:1]
	v_mul_f64_e32 v[0:1], s[24:25], v[0:1]
	v_fma_f64 v[53:54], v[49:50], s[24:25], v[51:52]
	s_delay_alu instid0(VALU_DEP_2) | instskip(SKIP_2) | instid1(VALU_DEP_2)
	v_fma_f64 v[0:1], v[49:50], s[2:3], v[0:1]
	v_fma_f64 v[49:50], v[83:84], s[18:19], v[40:41]
	;; [unrolled: 1-line block ×4, first 2 shown]
	s_delay_alu instid0(VALU_DEP_2) | instskip(NEXT) | instid1(VALU_DEP_2)
	v_fma_f64 v[51:52], v[89:90], s[2:3], v[51:52]
	v_fma_f64 v[55:56], v[63:64], s[14:15], v[49:50]
	s_delay_alu instid0(VALU_DEP_2) | instskip(NEXT) | instid1(VALU_DEP_2)
	v_fma_f64 v[93:94], v[65:66], s[14:15], v[51:52]
	v_add_f64_e32 v[49:50], v[55:56], v[53:54]
	s_delay_alu instid0(VALU_DEP_2)
	v_add_f64_e32 v[51:52], v[93:94], v[0:1]
	v_add_f64_e64 v[53:54], v[55:56], -v[53:54]
	v_add_f64_e64 v[55:56], v[93:94], -v[0:1]
	;; [unrolled: 1-line block ×4, first 2 shown]
	v_add_f64_e32 v[14:15], v[22:23], v[34:35]
	v_add_f64_e64 v[16:17], v[30:31], -v[34:35]
	v_add_f64_e64 v[20:21], v[26:27], -v[32:33]
	s_delay_alu instid0(VALU_DEP_4) | instskip(NEXT) | instid1(VALU_DEP_4)
	v_add_f64_e32 v[22:23], v[0:1], v[4:5]
	v_fma_f64 v[14:15], v[14:15], -0.5, v[2:3]
	s_delay_alu instid0(VALU_DEP_4)
	v_add_f64_e32 v[12:13], v[12:13], v[16:17]
	v_fma_f64 v[2:3], v[81:82], s[16:17], v[10:11]
	v_add_f64_e32 v[18:19], v[18:19], v[20:21]
	v_fma_f64 v[10:11], v[81:82], s[18:19], v[10:11]
	v_fma_f64 v[0:1], v[77:78], s[18:19], v[14:15]
	;; [unrolled: 1-line block ×4, first 2 shown]
	s_delay_alu instid0(VALU_DEP_4) | instskip(NEXT) | instid1(VALU_DEP_4)
	v_fma_f64 v[10:11], v[79:80], s[2:3], v[10:11]
	v_fma_f64 v[0:1], v[75:76], s[2:3], v[0:1]
	s_delay_alu instid0(VALU_DEP_4) | instskip(NEXT) | instid1(VALU_DEP_4)
	v_fma_f64 v[14:15], v[75:76], s[12:13], v[14:15]
	v_fma_f64 v[2:3], v[18:19], s[14:15], v[2:3]
	;; [unrolled: 3-line block ×3, first 2 shown]
	s_delay_alu instid0(VALU_DEP_4) | instskip(SKIP_1) | instid1(VALU_DEP_3)
	v_fma_f64 v[12:13], v[12:13], s[14:15], v[14:15]
	v_fma_f64 v[14:15], v[85:86], s[18:19], v[57:58]
	v_mul_f64_e32 v[4:5], s[18:19], v[0:1]
	v_mul_f64_e32 v[0:1], s[14:15], v[0:1]
	s_delay_alu instid0(VALU_DEP_3) | instskip(NEXT) | instid1(VALU_DEP_3)
	v_fma_f64 v[14:15], v[83:84], s[2:3], v[14:15]
	v_fma_f64 v[4:5], v[2:3], s[14:15], v[4:5]
	s_delay_alu instid0(VALU_DEP_3) | instskip(SKIP_3) | instid1(VALU_DEP_3)
	v_fma_f64 v[6:7], v[2:3], s[16:17], v[0:1]
	v_fma_f64 v[0:1], v[85:86], s[16:17], v[57:58]
	;; [unrolled: 1-line block ×5, first 2 shown]
	s_delay_alu instid0(VALU_DEP_3) | instskip(NEXT) | instid1(VALU_DEP_2)
	v_fma_f64 v[2:3], v[87:88], s[2:3], v[2:3]
	v_fma_f64 v[16:17], v[22:23], s[14:15], v[0:1]
	s_delay_alu instid0(VALU_DEP_2) | instskip(SKIP_1) | instid1(VALU_DEP_3)
	v_fma_f64 v[20:21], v[8:9], s[14:15], v[2:3]
	v_fma_f64 v[22:23], v[87:88], s[18:19], v[59:60]
	v_add_f64_e32 v[0:1], v[16:17], v[4:5]
	v_add_f64_e64 v[4:5], v[16:17], -v[4:5]
	v_fma_f64 v[16:17], v[89:90], s[16:17], v[61:62]
	v_add_f64_e32 v[2:3], v[20:21], v[6:7]
	v_add_f64_e64 v[6:7], v[20:21], -v[6:7]
	v_fma_f64 v[22:23], v[89:90], s[12:13], v[22:23]
	s_delay_alu instid0(VALU_DEP_4) | instskip(NEXT) | instid1(VALU_DEP_2)
	v_fma_f64 v[16:17], v[87:88], s[12:13], v[16:17]
	v_fma_f64 v[22:23], v[65:66], s[14:15], v[22:23]
	s_delay_alu instid0(VALU_DEP_2) | instskip(SKIP_2) | instid1(VALU_DEP_2)
	v_fma_f64 v[16:17], v[8:9], s[14:15], v[16:17]
	v_mul_f64_e32 v[8:9], s[18:19], v[12:13]
	v_mul_f64_e32 v[12:13], s[20:21], v[12:13]
	v_fma_f64 v[18:19], v[10:11], s[20:21], v[8:9]
	s_delay_alu instid0(VALU_DEP_2) | instskip(NEXT) | instid1(VALU_DEP_2)
	v_fma_f64 v[20:21], v[10:11], s[16:17], v[12:13]
	v_add_f64_e32 v[8:9], v[14:15], v[18:19]
	s_delay_alu instid0(VALU_DEP_2)
	v_add_f64_e32 v[10:11], v[16:17], v[20:21]
	v_add_f64_e64 v[12:13], v[14:15], -v[18:19]
	v_add_f64_e64 v[14:15], v[16:17], -v[20:21]
	v_fma_f64 v[16:17], v[75:76], s[18:19], v[73:74]
	v_fma_f64 v[18:19], v[79:80], s[16:17], v[71:72]
	;; [unrolled: 1-line block ×3, first 2 shown]
	s_delay_alu instid0(VALU_DEP_3) | instskip(NEXT) | instid1(VALU_DEP_3)
	v_fma_f64 v[16:17], v[77:78], s[12:13], v[16:17]
	v_fma_f64 v[18:19], v[81:82], s[2:3], v[18:19]
	s_delay_alu instid0(VALU_DEP_3) | instskip(NEXT) | instid1(VALU_DEP_3)
	v_fma_f64 v[20:21], v[85:86], s[2:3], v[20:21]
	v_fma_f64 v[16:17], v[69:70], s[14:15], v[16:17]
	;; [unrolled: 3-line block ×3, first 2 shown]
	s_delay_alu instid0(VALU_DEP_3) | instskip(SKIP_1) | instid1(VALU_DEP_2)
	v_mul_f64_e32 v[24:25], s[12:13], v[16:17]
	v_mul_f64_e32 v[16:17], s[22:23], v[16:17]
	v_fma_f64 v[24:25], v[18:19], s[22:23], v[24:25]
	s_delay_alu instid0(VALU_DEP_2) | instskip(SKIP_1) | instid1(VALU_DEP_2)
	v_fma_f64 v[26:27], v[18:19], s[2:3], v[16:17]
	s_mul_u64 s[2:3], s[4:5], 0x1900
	v_add_f64_e32 v[16:17], v[20:21], v[24:25]
	s_delay_alu instid0(VALU_DEP_2)
	v_add_f64_e32 v[18:19], v[22:23], v[26:27]
	v_add_f64_e64 v[20:21], v[20:21], -v[24:25]
	v_add_f64_e64 v[22:23], v[22:23], -v[26:27]
	ds_store_b128 v92, v[36:39]
	ds_store_b128 v92, v[49:52] offset:1600
	ds_store_b128 v92, v[0:3] offset:3200
	;; [unrolled: 1-line block ×9, first 2 shown]
	global_wb scope:SCOPE_SE
	s_wait_dscnt 0x0
	s_barrier_signal -1
	s_barrier_wait -1
	global_inv scope:SCOPE_SE
	scratch_load_b128 v[18:21], off, off offset:552 th:TH_LOAD_LU ; 16-byte Folded Reload
	ds_load_b128 v[0:3], v48 offset:16000
	s_wait_dscnt 0x0
	v_mul_f64_e32 v[4:5], v[206:207], v[2:3]
	s_delay_alu instid0(VALU_DEP_1)
	v_fma_f64 v[8:9], v[204:205], v[0:1], v[4:5]
	v_mul_f64_e32 v[0:1], v[206:207], v[0:1]
	ds_load_b128 v[4:7], v48 offset:32000
	v_fma_f64 v[2:3], v[204:205], v[2:3], -v[0:1]
	s_wait_dscnt 0x0
	v_mul_f64_e32 v[0:1], v[210:211], v[6:7]
	s_delay_alu instid0(VALU_DEP_1) | instskip(SKIP_1) | instid1(VALU_DEP_1)
	v_fma_f64 v[0:1], v[208:209], v[4:5], v[0:1]
	v_mul_f64_e32 v[4:5], v[210:211], v[4:5]
	v_fma_f64 v[14:15], v[208:209], v[6:7], -v[4:5]
	ds_load_b128 v[4:7], v48 offset:48000
	s_wait_loadcnt_dscnt 0x0
	v_mul_f64_e32 v[10:11], v[20:21], v[6:7]
	s_delay_alu instid0(VALU_DEP_1)
	v_fma_f64 v[16:17], v[18:19], v[4:5], v[10:11]
	v_mul_f64_e32 v[4:5], v[20:21], v[4:5]
	scratch_load_b128 v[20:23], off, off offset:344 th:TH_LOAD_LU ; 16-byte Folded Reload
	ds_load_b128 v[10:13], v48 offset:19200
	v_add_f64_e64 v[73:74], v[8:9], -v[16:17]
	v_fma_f64 v[18:19], v[18:19], v[6:7], -v[4:5]
	s_delay_alu instid0(VALU_DEP_1) | instskip(NEXT) | instid1(VALU_DEP_1)
	v_add_f64_e64 v[71:72], v[2:3], -v[18:19]
	v_fma_f64 v[2:3], v[2:3], 2.0, -v[71:72]
	s_wait_loadcnt_dscnt 0x0
	v_mul_f64_e32 v[4:5], v[22:23], v[12:13]
	v_mul_f64_e32 v[6:7], v[22:23], v[10:11]
	scratch_load_b128 v[22:25], off, off offset:328 th:TH_LOAD_LU ; 16-byte Folded Reload
	v_fma_f64 v[4:5], v[20:21], v[10:11], v[4:5]
	v_fma_f64 v[6:7], v[20:21], v[12:13], -v[6:7]
	ds_load_b128 v[10:13], v48 offset:35200
	s_wait_loadcnt_dscnt 0x0
	v_mul_f64_e32 v[20:21], v[24:25], v[12:13]
	s_delay_alu instid0(VALU_DEP_1) | instskip(SKIP_1) | instid1(VALU_DEP_1)
	v_fma_f64 v[20:21], v[22:23], v[10:11], v[20:21]
	v_mul_f64_e32 v[10:11], v[24:25], v[10:11]
	v_fma_f64 v[22:23], v[22:23], v[12:13], -v[10:11]
	ds_load_b128 v[10:13], v48 offset:51200
	s_wait_dscnt 0x0
	v_mul_f64_e32 v[24:25], v[98:99], v[12:13]
	s_delay_alu instid0(VALU_DEP_1) | instskip(SKIP_1) | instid1(VALU_DEP_2)
	v_fma_f64 v[24:25], v[96:97], v[10:11], v[24:25]
	v_mul_f64_e32 v[10:11], v[98:99], v[10:11]
	v_add_f64_e64 v[79:80], v[4:5], -v[24:25]
	s_delay_alu instid0(VALU_DEP_2) | instskip(SKIP_4) | instid1(VALU_DEP_2)
	v_fma_f64 v[26:27], v[96:97], v[12:13], -v[10:11]
	ds_load_b128 v[10:13], v48 offset:22400
	s_wait_dscnt 0x0
	v_mul_f64_e32 v[28:29], v[122:123], v[12:13]
	v_add_f64_e64 v[77:78], v[6:7], -v[26:27]
	v_fma_f64 v[34:35], v[120:121], v[10:11], v[28:29]
	v_mul_f64_e32 v[10:11], v[122:123], v[10:11]
	s_delay_alu instid0(VALU_DEP_3) | instskip(NEXT) | instid1(VALU_DEP_2)
	v_fma_f64 v[6:7], v[6:7], 2.0, -v[77:78]
	v_fma_f64 v[36:37], v[120:121], v[12:13], -v[10:11]
	ds_load_b128 v[10:13], v48 offset:38400
	s_wait_dscnt 0x0
	v_mul_f64_e32 v[28:29], v[142:143], v[12:13]
	s_delay_alu instid0(VALU_DEP_1) | instskip(SKIP_1) | instid1(VALU_DEP_1)
	v_fma_f64 v[28:29], v[140:141], v[10:11], v[28:29]
	v_mul_f64_e32 v[10:11], v[142:143], v[10:11]
	v_fma_f64 v[30:31], v[140:141], v[12:13], -v[10:11]
	ds_load_b128 v[10:13], v48 offset:54400
	s_wait_dscnt 0x0
	v_mul_f64_e32 v[32:33], v[146:147], v[12:13]
	s_delay_alu instid0(VALU_DEP_1) | instskip(SKIP_1) | instid1(VALU_DEP_2)
	v_fma_f64 v[32:33], v[144:145], v[10:11], v[32:33]
	v_mul_f64_e32 v[10:11], v[146:147], v[10:11]
	v_add_f64_e64 v[85:86], v[34:35], -v[32:33]
	s_delay_alu instid0(VALU_DEP_2) | instskip(SKIP_4) | instid1(VALU_DEP_2)
	v_fma_f64 v[38:39], v[144:145], v[12:13], -v[10:11]
	ds_load_b128 v[10:13], v48 offset:25600
	s_wait_dscnt 0x0
	v_mul_f64_e32 v[40:41], v[174:175], v[12:13]
	v_add_f64_e64 v[38:39], v[36:37], -v[38:39]
	v_fma_f64 v[40:41], v[172:173], v[10:11], v[40:41]
	v_mul_f64_e32 v[10:11], v[174:175], v[10:11]
	s_delay_alu instid0(VALU_DEP_1) | instskip(SKIP_3) | instid1(VALU_DEP_1)
	v_fma_f64 v[42:43], v[172:173], v[12:13], -v[10:11]
	ds_load_b128 v[10:13], v48 offset:41600
	s_wait_dscnt 0x0
	v_mul_f64_e32 v[44:45], v[186:187], v[12:13]
	v_fma_f64 v[44:45], v[184:185], v[10:11], v[44:45]
	v_mul_f64_e32 v[10:11], v[186:187], v[10:11]
	s_delay_alu instid0(VALU_DEP_1) | instskip(SKIP_3) | instid1(VALU_DEP_1)
	v_fma_f64 v[46:47], v[184:185], v[12:13], -v[10:11]
	ds_load_b128 v[10:13], v48 offset:57600
	s_wait_dscnt 0x0
	v_mul_f64_e32 v[49:50], v[190:191], v[12:13]
	v_fma_f64 v[49:50], v[188:189], v[10:11], v[49:50]
	v_mul_f64_e32 v[10:11], v[190:191], v[10:11]
	s_delay_alu instid0(VALU_DEP_2) | instskip(NEXT) | instid1(VALU_DEP_2)
	v_add_f64_e64 v[49:50], v[40:41], -v[49:50]
	v_fma_f64 v[51:52], v[188:189], v[12:13], -v[10:11]
	ds_load_b128 v[10:13], v48 offset:28800
	s_wait_dscnt 0x0
	v_mul_f64_e32 v[53:54], v[194:195], v[12:13]
	v_add_f64_e64 v[51:52], v[42:43], -v[51:52]
	s_delay_alu instid0(VALU_DEP_2) | instskip(SKIP_1) | instid1(VALU_DEP_1)
	v_fma_f64 v[53:54], v[192:193], v[10:11], v[53:54]
	v_mul_f64_e32 v[10:11], v[194:195], v[10:11]
	v_fma_f64 v[55:56], v[192:193], v[12:13], -v[10:11]
	ds_load_b128 v[10:13], v48 offset:44800
	s_wait_dscnt 0x0
	v_mul_f64_e32 v[57:58], v[198:199], v[12:13]
	s_delay_alu instid0(VALU_DEP_1) | instskip(SKIP_1) | instid1(VALU_DEP_1)
	v_fma_f64 v[57:58], v[196:197], v[10:11], v[57:58]
	v_mul_f64_e32 v[10:11], v[198:199], v[10:11]
	v_fma_f64 v[59:60], v[196:197], v[12:13], -v[10:11]
	ds_load_b128 v[10:13], v48 offset:60800
	s_wait_dscnt 0x0
	v_mul_f64_e32 v[61:62], v[202:203], v[12:13]
	s_delay_alu instid0(VALU_DEP_1) | instskip(SKIP_1) | instid1(VALU_DEP_2)
	v_fma_f64 v[61:62], v[200:201], v[10:11], v[61:62]
	v_mul_f64_e32 v[10:11], v[202:203], v[10:11]
	v_add_f64_e64 v[61:62], v[53:54], -v[61:62]
	s_delay_alu instid0(VALU_DEP_2)
	v_fma_f64 v[63:64], v[200:201], v[12:13], -v[10:11]
	ds_load_b128 v[10:13], v48
	s_wait_dscnt 0x0
	v_add_f64_e64 v[0:1], v[10:11], -v[0:1]
	v_add_f64_e64 v[65:66], v[12:13], -v[14:15]
	;; [unrolled: 1-line block ×3, first 2 shown]
	s_delay_alu instid0(VALU_DEP_3) | instskip(NEXT) | instid1(VALU_DEP_3)
	v_fma_f64 v[67:68], v[10:11], 2.0, -v[0:1]
	v_fma_f64 v[69:70], v[12:13], 2.0, -v[65:66]
	v_add_f64_e32 v[10:11], v[0:1], v[71:72]
	v_add_f64_e64 v[12:13], v[65:66], -v[73:74]
	s_delay_alu instid0(VALU_DEP_3) | instskip(NEXT) | instid1(VALU_DEP_3)
	v_add_f64_e64 v[2:3], v[69:70], -v[2:3]
	v_fma_f64 v[14:15], v[0:1], 2.0, -v[10:11]
	s_delay_alu instid0(VALU_DEP_3)
	v_fma_f64 v[16:17], v[65:66], 2.0, -v[12:13]
	ds_store_b128 v48, v[10:13] offset:48000
	ds_load_b128 v[10:13], v48 offset:3200
	s_wait_dscnt 0x0
	v_add_f64_e64 v[0:1], v[10:11], -v[20:21]
	v_add_f64_e64 v[20:21], v[12:13], -v[22:23]
	s_delay_alu instid0(VALU_DEP_2) | instskip(NEXT) | instid1(VALU_DEP_2)
	v_fma_f64 v[65:66], v[10:11], 2.0, -v[0:1]
	v_fma_f64 v[75:76], v[12:13], 2.0, -v[20:21]
	v_add_f64_e32 v[10:11], v[0:1], v[77:78]
	v_add_f64_e64 v[12:13], v[20:21], -v[79:80]
	s_delay_alu instid0(VALU_DEP_3) | instskip(NEXT) | instid1(VALU_DEP_3)
	v_add_f64_e64 v[6:7], v[75:76], -v[6:7]
	v_fma_f64 v[18:19], v[0:1], 2.0, -v[10:11]
	s_delay_alu instid0(VALU_DEP_3)
	v_fma_f64 v[20:21], v[20:21], 2.0, -v[12:13]
	ds_store_b128 v48, v[10:13] offset:51200
	ds_load_b128 v[10:13], v48 offset:6400
	s_wait_dscnt 0x0
	v_add_f64_e64 v[0:1], v[10:11], -v[28:29]
	v_add_f64_e64 v[24:25], v[12:13], -v[30:31]
	s_delay_alu instid0(VALU_DEP_2) | instskip(NEXT) | instid1(VALU_DEP_2)
	v_fma_f64 v[81:82], v[10:11], 2.0, -v[0:1]
	v_fma_f64 v[83:84], v[12:13], 2.0, -v[24:25]
	v_add_f64_e32 v[10:11], v[0:1], v[38:39]
	v_add_f64_e64 v[12:13], v[24:25], -v[85:86]
	s_delay_alu instid0(VALU_DEP_2) | instskip(NEXT) | instid1(VALU_DEP_2)
	v_fma_f64 v[22:23], v[0:1], 2.0, -v[10:11]
	v_fma_f64 v[24:25], v[24:25], 2.0, -v[12:13]
	ds_store_b128 v48, v[10:13] offset:54400
	ds_load_b128 v[10:13], v48 offset:9600
	s_wait_dscnt 0x0
	v_add_f64_e64 v[0:1], v[10:11], -v[44:45]
	v_add_f64_e64 v[28:29], v[12:13], -v[46:47]
	s_delay_alu instid0(VALU_DEP_2) | instskip(NEXT) | instid1(VALU_DEP_2)
	v_fma_f64 v[44:45], v[10:11], 2.0, -v[0:1]
	v_fma_f64 v[46:47], v[12:13], 2.0, -v[28:29]
	v_add_f64_e32 v[10:11], v[0:1], v[51:52]
	v_add_f64_e64 v[12:13], v[28:29], -v[49:50]
	s_delay_alu instid0(VALU_DEP_2) | instskip(NEXT) | instid1(VALU_DEP_2)
	v_fma_f64 v[26:27], v[0:1], 2.0, -v[10:11]
	v_fma_f64 v[28:29], v[28:29], 2.0, -v[12:13]
	ds_store_b128 v48, v[10:13] offset:57600
	ds_load_b128 v[10:13], v48 offset:12800
	s_wait_dscnt 0x0
	v_add_f64_e64 v[0:1], v[10:11], -v[57:58]
	v_add_f64_e64 v[32:33], v[12:13], -v[59:60]
	s_delay_alu instid0(VALU_DEP_2) | instskip(SKIP_1) | instid1(VALU_DEP_3)
	v_fma_f64 v[57:58], v[10:11], 2.0, -v[0:1]
	v_add_f64_e32 v[10:11], v[0:1], v[63:64]
	v_fma_f64 v[59:60], v[12:13], 2.0, -v[32:33]
	v_add_f64_e64 v[12:13], v[32:33], -v[61:62]
	ds_store_b128 v48, v[10:13] offset:60800
	ds_store_b128 v48, v[14:17] offset:16000
	;; [unrolled: 1-line block ×3, first 2 shown]
	v_fma_f64 v[30:31], v[0:1], 2.0, -v[10:11]
	v_fma_f64 v[0:1], v[4:5], 2.0, -v[79:80]
	v_fma_f64 v[32:33], v[32:33], 2.0, -v[12:13]
	v_fma_f64 v[12:13], v[75:76], 2.0, -v[6:7]
	s_delay_alu instid0(VALU_DEP_3) | instskip(SKIP_1) | instid1(VALU_DEP_2)
	v_add_f64_e64 v[4:5], v[65:66], -v[0:1]
	v_fma_f64 v[0:1], v[34:35], 2.0, -v[85:86]
	v_fma_f64 v[10:11], v[65:66], 2.0, -v[4:5]
	ds_store_b128 v48, v[4:7] offset:35200
	v_fma_f64 v[6:7], v[36:37], 2.0, -v[38:39]
	v_add_f64_e64 v[4:5], v[81:82], -v[0:1]
	v_fma_f64 v[0:1], v[8:9], 2.0, -v[73:74]
	s_delay_alu instid0(VALU_DEP_3) | instskip(NEXT) | instid1(VALU_DEP_3)
	v_add_f64_e64 v[6:7], v[83:84], -v[6:7]
	v_fma_f64 v[14:15], v[81:82], 2.0, -v[4:5]
	s_delay_alu instid0(VALU_DEP_3)
	v_add_f64_e64 v[0:1], v[67:68], -v[0:1]
	ds_store_b128 v48, v[4:7] offset:38400
	ds_store_b128 v48, v[22:25] offset:22400
	;; [unrolled: 1-line block ×3, first 2 shown]
	v_fma_f64 v[16:17], v[83:84], 2.0, -v[6:7]
	v_fma_f64 v[4:5], v[67:68], 2.0, -v[0:1]
	;; [unrolled: 1-line block ×3, first 2 shown]
	ds_store_b128 v48, v[0:3] offset:32000
	ds_store_b128 v48, v[30:33] offset:28800
	v_fma_f64 v[0:1], v[40:41], 2.0, -v[49:50]
	v_fma_f64 v[2:3], v[42:43], 2.0, -v[51:52]
	s_delay_alu instid0(VALU_DEP_2) | instskip(NEXT) | instid1(VALU_DEP_2)
	v_add_f64_e64 v[0:1], v[44:45], -v[0:1]
	v_add_f64_e64 v[2:3], v[46:47], -v[2:3]
	s_delay_alu instid0(VALU_DEP_2) | instskip(NEXT) | instid1(VALU_DEP_2)
	v_fma_f64 v[18:19], v[44:45], 2.0, -v[0:1]
	v_fma_f64 v[20:21], v[46:47], 2.0, -v[2:3]
	ds_store_b128 v48, v[0:3] offset:41600
	v_fma_f64 v[0:1], v[53:54], 2.0, -v[61:62]
	v_fma_f64 v[2:3], v[55:56], 2.0, -v[63:64]
	s_delay_alu instid0(VALU_DEP_2) | instskip(NEXT) | instid1(VALU_DEP_2)
	v_add_f64_e64 v[0:1], v[57:58], -v[0:1]
	v_add_f64_e64 v[2:3], v[59:60], -v[2:3]
	s_delay_alu instid0(VALU_DEP_2) | instskip(NEXT) | instid1(VALU_DEP_2)
	v_fma_f64 v[22:23], v[57:58], 2.0, -v[0:1]
	v_fma_f64 v[24:25], v[59:60], 2.0, -v[2:3]
	ds_store_b128 v48, v[0:3] offset:44800
	ds_store_b128 v48, v[10:13] offset:3200
	ds_store_b128 v48, v[14:17] offset:6400
	ds_store_b128 v48, v[18:21] offset:9600
	ds_store_b128 v48, v[22:25] offset:12800
	ds_store_b128 v48, v[4:7]
	global_wb scope:SCOPE_SE
	s_wait_dscnt 0x0
	s_barrier_signal -1
	s_barrier_wait -1
	global_inv scope:SCOPE_SE
	s_clause 0x5
	scratch_load_b128 v[6:9], off, off offset:152 th:TH_LOAD_LU
	scratch_load_b128 v[10:13], off, off offset:136 th:TH_LOAD_LU
	;; [unrolled: 1-line block ×6, first 2 shown]
	ds_load_b128 v[0:3], v48
	s_clause 0xc
	scratch_load_b128 v[26:29], off, off offset:40 th:TH_LOAD_LU
	scratch_load_b128 v[30:33], off, off offset:56 th:TH_LOAD_LU
	;; [unrolled: 1-line block ×13, first 2 shown]
	s_wait_loadcnt_dscnt 0x1200
	v_mul_f64_e32 v[4:5], v[8:9], v[2:3]
	s_delay_alu instid0(VALU_DEP_1) | instskip(SKIP_1) | instid1(VALU_DEP_1)
	v_fma_f64 v[4:5], v[6:7], v[0:1], v[4:5]
	v_mul_f64_e32 v[0:1], v[8:9], v[0:1]
	v_fma_f64 v[6:7], v[6:7], v[2:3], -v[0:1]
	ds_load_b128 v[0:3], v48 offset:6400
	s_wait_loadcnt_dscnt 0x1100
	v_mul_f64_e32 v[8:9], v[12:13], v[2:3]
	s_delay_alu instid0(VALU_DEP_1) | instskip(SKIP_1) | instid1(VALU_DEP_1)
	v_fma_f64 v[8:9], v[10:11], v[0:1], v[8:9]
	v_mul_f64_e32 v[0:1], v[12:13], v[0:1]
	v_fma_f64 v[10:11], v[10:11], v[2:3], -v[0:1]
	ds_load_b128 v[0:3], v48 offset:12800
	;; [unrolled: 7-line block ×9, first 2 shown]
	s_wait_dscnt 0x0
	v_mul_f64_e32 v[40:41], v[44:45], v[2:3]
	s_delay_alu instid0(VALU_DEP_1) | instskip(SKIP_1) | instid1(VALU_DEP_1)
	v_fma_f64 v[40:41], v[42:43], v[0:1], v[40:41]
	v_mul_f64_e32 v[0:1], v[44:45], v[0:1]
	v_fma_f64 v[42:43], v[42:43], v[2:3], -v[0:1]
	ds_load_b128 v[0:3], v48 offset:3200
	s_wait_loadcnt_dscnt 0x800
	v_mul_f64_e32 v[44:45], v[51:52], v[2:3]
	s_delay_alu instid0(VALU_DEP_1)
	v_fma_f64 v[44:45], v[49:50], v[0:1], v[44:45]
	v_mul_f64_e32 v[0:1], v[51:52], v[0:1]
	scratch_load_b128 v[51:54], off, off offset:184 th:TH_LOAD_LU ; 16-byte Folded Reload
	v_fma_f64 v[46:47], v[49:50], v[2:3], -v[0:1]
	ds_load_b128 v[0:3], v48 offset:9600
	s_wait_loadcnt_dscnt 0x0
	v_mul_f64_e32 v[49:50], v[53:54], v[2:3]
	s_delay_alu instid0(VALU_DEP_1) | instskip(SKIP_1) | instid1(VALU_DEP_1)
	v_fma_f64 v[49:50], v[51:52], v[0:1], v[49:50]
	v_mul_f64_e32 v[0:1], v[53:54], v[0:1]
	v_fma_f64 v[51:52], v[51:52], v[2:3], -v[0:1]
	ds_load_b128 v[0:3], v48 offset:16000
	s_wait_dscnt 0x0
	v_mul_f64_e32 v[53:54], v[57:58], v[2:3]
	s_delay_alu instid0(VALU_DEP_1) | instskip(SKIP_1) | instid1(VALU_DEP_1)
	v_fma_f64 v[53:54], v[55:56], v[0:1], v[53:54]
	v_mul_f64_e32 v[0:1], v[57:58], v[0:1]
	v_fma_f64 v[55:56], v[55:56], v[2:3], -v[0:1]
	ds_load_b128 v[0:3], v48 offset:22400
	s_wait_dscnt 0x0
	v_mul_f64_e32 v[57:58], v[61:62], v[2:3]
	s_delay_alu instid0(VALU_DEP_1) | instskip(SKIP_1) | instid1(VALU_DEP_1)
	v_fma_f64 v[57:58], v[59:60], v[0:1], v[57:58]
	v_mul_f64_e32 v[0:1], v[61:62], v[0:1]
	v_fma_f64 v[59:60], v[59:60], v[2:3], -v[0:1]
	ds_load_b128 v[0:3], v48 offset:28800
	s_wait_dscnt 0x0
	v_mul_f64_e32 v[61:62], v[65:66], v[2:3]
	s_delay_alu instid0(VALU_DEP_1) | instskip(SKIP_1) | instid1(VALU_DEP_1)
	v_fma_f64 v[61:62], v[63:64], v[0:1], v[61:62]
	v_mul_f64_e32 v[0:1], v[65:66], v[0:1]
	v_fma_f64 v[63:64], v[63:64], v[2:3], -v[0:1]
	ds_load_b128 v[0:3], v48 offset:35200
	s_wait_dscnt 0x0
	v_mul_f64_e32 v[65:66], v[69:70], v[2:3]
	s_delay_alu instid0(VALU_DEP_1) | instskip(SKIP_1) | instid1(VALU_DEP_1)
	v_fma_f64 v[65:66], v[67:68], v[0:1], v[65:66]
	v_mul_f64_e32 v[0:1], v[69:70], v[0:1]
	v_fma_f64 v[67:68], v[67:68], v[2:3], -v[0:1]
	ds_load_b128 v[0:3], v48 offset:41600
	s_wait_dscnt 0x0
	v_mul_f64_e32 v[69:70], v[73:74], v[2:3]
	s_delay_alu instid0(VALU_DEP_1) | instskip(SKIP_1) | instid1(VALU_DEP_1)
	v_fma_f64 v[69:70], v[71:72], v[0:1], v[69:70]
	v_mul_f64_e32 v[0:1], v[73:74], v[0:1]
	v_fma_f64 v[71:72], v[71:72], v[2:3], -v[0:1]
	ds_load_b128 v[0:3], v48 offset:48000
	s_wait_dscnt 0x0
	v_mul_f64_e32 v[73:74], v[77:78], v[2:3]
	s_delay_alu instid0(VALU_DEP_1) | instskip(SKIP_1) | instid1(VALU_DEP_1)
	v_fma_f64 v[73:74], v[75:76], v[0:1], v[73:74]
	v_mul_f64_e32 v[0:1], v[77:78], v[0:1]
	v_fma_f64 v[75:76], v[75:76], v[2:3], -v[0:1]
	ds_load_b128 v[0:3], v48 offset:54400
	s_wait_dscnt 0x0
	v_mul_f64_e32 v[77:78], v[81:82], v[2:3]
	s_delay_alu instid0(VALU_DEP_1) | instskip(SKIP_1) | instid1(VALU_DEP_1)
	v_fma_f64 v[77:78], v[79:80], v[0:1], v[77:78]
	v_mul_f64_e32 v[0:1], v[81:82], v[0:1]
	v_fma_f64 v[79:80], v[79:80], v[2:3], -v[0:1]
	ds_load_b128 v[0:3], v48 offset:60800
	s_wait_dscnt 0x0
	v_mul_f64_e32 v[81:82], v[85:86], v[2:3]
	s_delay_alu instid0(VALU_DEP_1) | instskip(SKIP_1) | instid1(VALU_DEP_1)
	v_fma_f64 v[81:82], v[83:84], v[0:1], v[81:82]
	v_mul_f64_e32 v[0:1], v[85:86], v[0:1]
	v_fma_f64 v[83:84], v[83:84], v[2:3], -v[0:1]
	scratch_load_b64 v[2:3], off, off th:TH_LOAD_LU ; 8-byte Folded Reload
	s_wait_loadcnt 0x0
	v_mad_co_u64_u32 v[0:1], null, s6, v2, 0
	s_delay_alu instid0(VALU_DEP_1) | instskip(SKIP_1) | instid1(VALU_DEP_2)
	v_mad_co_u64_u32 v[1:2], null, s7, v2, v[1:2]
	v_mad_co_u64_u32 v[2:3], null, s4, v139, 0
	v_lshlrev_b64_e32 v[0:1], 4, v[0:1]
	s_delay_alu instid0(VALU_DEP_2) | instskip(SKIP_1) | instid1(VALU_DEP_2)
	v_mad_co_u64_u32 v[85:86], null, s5, v139, v[3:4]
	s_mul_i32 s5, s5, 0xffff2b80
	v_add_co_u32 v48, vcc_lo, s0, v0
	s_wait_alu 0xfffd
	s_delay_alu instid0(VALU_DEP_3) | instskip(NEXT) | instid1(VALU_DEP_3)
	v_add_co_ci_u32_e32 v86, vcc_lo, s1, v1, vcc_lo
	v_mov_b32_e32 v3, v85
	s_mov_b32 s0, 0xd2f1a9fc
	s_mov_b32 s1, 0x3f30624d
	s_delay_alu instid0(VALU_DEP_1) | instskip(SKIP_3) | instid1(VALU_DEP_3)
	v_lshlrev_b64_e32 v[0:1], 4, v[2:3]
	s_wait_alu 0xfffe
	v_mul_f64_e32 v[2:3], s[0:1], v[6:7]
	v_mul_f64_e32 v[6:7], s[0:1], v[59:60]
	v_add_co_u32 v85, vcc_lo, v48, v0
	s_wait_alu 0xfffd
	v_add_co_ci_u32_e32 v86, vcc_lo, v86, v1, vcc_lo
	v_mul_f64_e32 v[0:1], s[0:1], v[4:5]
	s_delay_alu instid0(VALU_DEP_3) | instskip(SKIP_1) | instid1(VALU_DEP_3)
	v_add_co_u32 v4, vcc_lo, v85, s2
	s_wait_alu 0xfffd
	v_add_co_ci_u32_e32 v5, vcc_lo, s3, v86, vcc_lo
	global_store_b128 v[85:86], v[0:3], off
	v_mul_f64_e32 v[0:1], s[0:1], v[8:9]
	v_mul_f64_e32 v[2:3], s[0:1], v[10:11]
	;; [unrolled: 1-line block ×3, first 2 shown]
	global_store_b128 v[4:5], v[0:3], off
	v_mul_f64_e32 v[0:1], s[0:1], v[12:13]
	v_mul_f64_e32 v[2:3], s[0:1], v[14:15]
	v_add_co_u32 v4, vcc_lo, v4, s2
	s_wait_alu 0xfffd
	v_add_co_ci_u32_e32 v5, vcc_lo, s3, v5, vcc_lo
	v_mul_f64_e32 v[12:13], s[0:1], v[65:66]
	v_mul_f64_e32 v[14:15], s[0:1], v[67:68]
	global_store_b128 v[4:5], v[0:3], off
	v_mul_f64_e32 v[0:1], s[0:1], v[16:17]
	v_mul_f64_e32 v[2:3], s[0:1], v[18:19]
	v_add_co_u32 v4, vcc_lo, v4, s2
	s_wait_alu 0xfffd
	v_add_co_ci_u32_e32 v5, vcc_lo, s3, v5, vcc_lo
	v_mul_f64_e32 v[16:17], s[0:1], v[69:70]
	v_mul_f64_e32 v[18:19], s[0:1], v[71:72]
	;; [unrolled: 8-line block ×5, first 2 shown]
	global_store_b128 v[4:5], v[0:3], off
	v_mul_f64_e32 v[0:1], s[0:1], v[32:33]
	v_mul_f64_e32 v[2:3], s[0:1], v[34:35]
	v_add_co_u32 v4, vcc_lo, v4, s2
	s_wait_alu 0xfffd
	v_add_co_ci_u32_e32 v5, vcc_lo, s3, v5, vcc_lo
	global_store_b128 v[4:5], v[0:3], off
	v_mul_f64_e32 v[0:1], s[0:1], v[36:37]
	v_mul_f64_e32 v[2:3], s[0:1], v[38:39]
	v_add_co_u32 v4, vcc_lo, v4, s2
	s_wait_alu 0xfffd
	v_add_co_ci_u32_e32 v5, vcc_lo, s3, v5, vcc_lo
	;; [unrolled: 6-line block ×3, first 2 shown]
	global_store_b128 v[4:5], v[0:3], off
	v_mul_f64_e32 v[0:1], s[0:1], v[44:45]
	v_mul_f64_e32 v[2:3], s[0:1], v[46:47]
	v_mad_co_u64_u32 v[4:5], null, 0xffff2b80, s4, v[4:5]
	s_sub_co_i32 s4, s5, s4
	s_wait_alu 0xfffe
	s_delay_alu instid0(VALU_DEP_1) | instskip(NEXT) | instid1(VALU_DEP_2)
	v_add_nc_u32_e32 v5, s4, v5
	v_add_co_u32 v8, vcc_lo, v4, s2
	s_wait_alu 0xfffd
	s_delay_alu instid0(VALU_DEP_2) | instskip(NEXT) | instid1(VALU_DEP_2)
	v_add_co_ci_u32_e32 v9, vcc_lo, s3, v5, vcc_lo
	v_add_co_u32 v32, vcc_lo, v8, s2
	s_wait_alu 0xfffd
	s_delay_alu instid0(VALU_DEP_2) | instskip(NEXT) | instid1(VALU_DEP_2)
	v_add_co_ci_u32_e32 v33, vcc_lo, s3, v9, vcc_lo
	v_add_co_u32 v34, vcc_lo, v32, s2
	s_wait_alu 0xfffd
	s_delay_alu instid0(VALU_DEP_2)
	v_add_co_ci_u32_e32 v35, vcc_lo, s3, v33, vcc_lo
	global_store_b128 v[4:5], v[0:3], off
	v_mul_f64_e32 v[0:1], s[0:1], v[49:50]
	v_mul_f64_e32 v[2:3], s[0:1], v[51:52]
	;; [unrolled: 1-line block ×3, first 2 shown]
	global_store_b128 v[8:9], v[0:3], off
	v_mul_f64_e32 v[0:1], s[0:1], v[53:54]
	v_mul_f64_e32 v[2:3], s[0:1], v[55:56]
	;; [unrolled: 1-line block ×3, first 2 shown]
	global_store_b128 v[32:33], v[0:3], off
	v_add_co_u32 v0, vcc_lo, v34, s2
	s_wait_alu 0xfffd
	v_add_co_ci_u32_e32 v1, vcc_lo, s3, v35, vcc_lo
	global_store_b128 v[34:35], v[4:7], off
	v_add_co_u32 v2, vcc_lo, v0, s2
	s_wait_alu 0xfffd
	v_add_co_ci_u32_e32 v3, vcc_lo, s3, v1, vcc_lo
	s_delay_alu instid0(VALU_DEP_2) | instskip(SKIP_1) | instid1(VALU_DEP_2)
	v_add_co_u32 v32, vcc_lo, v2, s2
	s_wait_alu 0xfffd
	v_add_co_ci_u32_e32 v33, vcc_lo, s3, v3, vcc_lo
	s_delay_alu instid0(VALU_DEP_2) | instskip(SKIP_1) | instid1(VALU_DEP_2)
	;; [unrolled: 4-line block ×4, first 2 shown]
	v_add_co_u32 v34, vcc_lo, v6, s2
	s_wait_alu 0xfffd
	v_add_co_ci_u32_e32 v35, vcc_lo, s3, v7, vcc_lo
	global_store_b128 v[0:1], v[8:11], off
	global_store_b128 v[2:3], v[12:15], off
	global_store_b128 v[32:33], v[16:19], off
	global_store_b128 v[4:5], v[20:23], off
	global_store_b128 v[6:7], v[24:27], off
	global_store_b128 v[34:35], v[28:31], off
.LBB0_2:
	s_nop 0
	s_sendmsg sendmsg(MSG_DEALLOC_VGPRS)
	s_endpgm
	.section	.rodata,"a",@progbits
	.p2align	6, 0x0
	.amdhsa_kernel bluestein_single_back_len4000_dim1_dp_op_CI_CI
		.amdhsa_group_segment_fixed_size 64000
		.amdhsa_private_segment_fixed_size 588
		.amdhsa_kernarg_size 104
		.amdhsa_user_sgpr_count 2
		.amdhsa_user_sgpr_dispatch_ptr 0
		.amdhsa_user_sgpr_queue_ptr 0
		.amdhsa_user_sgpr_kernarg_segment_ptr 1
		.amdhsa_user_sgpr_dispatch_id 0
		.amdhsa_user_sgpr_private_segment_size 0
		.amdhsa_wavefront_size32 1
		.amdhsa_uses_dynamic_stack 0
		.amdhsa_enable_private_segment 1
		.amdhsa_system_sgpr_workgroup_id_x 1
		.amdhsa_system_sgpr_workgroup_id_y 0
		.amdhsa_system_sgpr_workgroup_id_z 0
		.amdhsa_system_sgpr_workgroup_info 0
		.amdhsa_system_vgpr_workitem_id 0
		.amdhsa_next_free_vgpr 256
		.amdhsa_next_free_sgpr 27
		.amdhsa_reserve_vcc 1
		.amdhsa_float_round_mode_32 0
		.amdhsa_float_round_mode_16_64 0
		.amdhsa_float_denorm_mode_32 3
		.amdhsa_float_denorm_mode_16_64 3
		.amdhsa_fp16_overflow 0
		.amdhsa_workgroup_processor_mode 1
		.amdhsa_memory_ordered 1
		.amdhsa_forward_progress 0
		.amdhsa_round_robin_scheduling 0
		.amdhsa_exception_fp_ieee_invalid_op 0
		.amdhsa_exception_fp_denorm_src 0
		.amdhsa_exception_fp_ieee_div_zero 0
		.amdhsa_exception_fp_ieee_overflow 0
		.amdhsa_exception_fp_ieee_underflow 0
		.amdhsa_exception_fp_ieee_inexact 0
		.amdhsa_exception_int_div_zero 0
	.end_amdhsa_kernel
	.text
.Lfunc_end0:
	.size	bluestein_single_back_len4000_dim1_dp_op_CI_CI, .Lfunc_end0-bluestein_single_back_len4000_dim1_dp_op_CI_CI
                                        ; -- End function
	.section	.AMDGPU.csdata,"",@progbits
; Kernel info:
; codeLenInByte = 27980
; NumSgprs: 29
; NumVgprs: 256
; ScratchSize: 588
; MemoryBound: 0
; FloatMode: 240
; IeeeMode: 1
; LDSByteSize: 64000 bytes/workgroup (compile time only)
; SGPRBlocks: 3
; VGPRBlocks: 31
; NumSGPRsForWavesPerEU: 29
; NumVGPRsForWavesPerEU: 256
; Occupancy: 4
; WaveLimiterHint : 1
; COMPUTE_PGM_RSRC2:SCRATCH_EN: 1
; COMPUTE_PGM_RSRC2:USER_SGPR: 2
; COMPUTE_PGM_RSRC2:TRAP_HANDLER: 0
; COMPUTE_PGM_RSRC2:TGID_X_EN: 1
; COMPUTE_PGM_RSRC2:TGID_Y_EN: 0
; COMPUTE_PGM_RSRC2:TGID_Z_EN: 0
; COMPUTE_PGM_RSRC2:TIDIG_COMP_CNT: 0
	.text
	.p2alignl 7, 3214868480
	.fill 96, 4, 3214868480
	.type	__hip_cuid_64f5be1e15edbd96,@object ; @__hip_cuid_64f5be1e15edbd96
	.section	.bss,"aw",@nobits
	.globl	__hip_cuid_64f5be1e15edbd96
__hip_cuid_64f5be1e15edbd96:
	.byte	0                               ; 0x0
	.size	__hip_cuid_64f5be1e15edbd96, 1

	.ident	"AMD clang version 19.0.0git (https://github.com/RadeonOpenCompute/llvm-project roc-6.4.0 25133 c7fe45cf4b819c5991fe208aaa96edf142730f1d)"
	.section	".note.GNU-stack","",@progbits
	.addrsig
	.addrsig_sym __hip_cuid_64f5be1e15edbd96
	.amdgpu_metadata
---
amdhsa.kernels:
  - .args:
      - .actual_access:  read_only
        .address_space:  global
        .offset:         0
        .size:           8
        .value_kind:     global_buffer
      - .actual_access:  read_only
        .address_space:  global
        .offset:         8
        .size:           8
        .value_kind:     global_buffer
      - .actual_access:  read_only
        .address_space:  global
        .offset:         16
        .size:           8
        .value_kind:     global_buffer
      - .actual_access:  read_only
        .address_space:  global
        .offset:         24
        .size:           8
        .value_kind:     global_buffer
      - .actual_access:  read_only
        .address_space:  global
        .offset:         32
        .size:           8
        .value_kind:     global_buffer
      - .offset:         40
        .size:           8
        .value_kind:     by_value
      - .address_space:  global
        .offset:         48
        .size:           8
        .value_kind:     global_buffer
      - .address_space:  global
        .offset:         56
        .size:           8
        .value_kind:     global_buffer
      - .address_space:  global
        .offset:         64
        .size:           8
        .value_kind:     global_buffer
      - .address_space:  global
        .offset:         72
        .size:           8
        .value_kind:     global_buffer
      - .offset:         80
        .size:           4
        .value_kind:     by_value
      - .address_space:  global
        .offset:         88
        .size:           8
        .value_kind:     global_buffer
      - .address_space:  global
        .offset:         96
        .size:           8
        .value_kind:     global_buffer
    .group_segment_fixed_size: 64000
    .kernarg_segment_align: 8
    .kernarg_segment_size: 104
    .language:       OpenCL C
    .language_version:
      - 2
      - 0
    .max_flat_workgroup_size: 200
    .name:           bluestein_single_back_len4000_dim1_dp_op_CI_CI
    .private_segment_fixed_size: 588
    .sgpr_count:     29
    .sgpr_spill_count: 0
    .symbol:         bluestein_single_back_len4000_dim1_dp_op_CI_CI.kd
    .uniform_work_group_size: 1
    .uses_dynamic_stack: false
    .vgpr_count:     256
    .vgpr_spill_count: 146
    .wavefront_size: 32
    .workgroup_processor_mode: 1
amdhsa.target:   amdgcn-amd-amdhsa--gfx1201
amdhsa.version:
  - 1
  - 2
...

	.end_amdgpu_metadata
